;; amdgpu-corpus repo=ROCm/rocFFT kind=compiled arch=gfx1100 opt=O3
	.text
	.amdgcn_target "amdgcn-amd-amdhsa--gfx1100"
	.amdhsa_code_object_version 6
	.protected	fft_rtc_fwd_len150_factors_10_5_3_wgs_60_tpt_5_halfLds_half_ip_CI_unitstride_sbrr_dirReg ; -- Begin function fft_rtc_fwd_len150_factors_10_5_3_wgs_60_tpt_5_halfLds_half_ip_CI_unitstride_sbrr_dirReg
	.globl	fft_rtc_fwd_len150_factors_10_5_3_wgs_60_tpt_5_halfLds_half_ip_CI_unitstride_sbrr_dirReg
	.p2align	8
	.type	fft_rtc_fwd_len150_factors_10_5_3_wgs_60_tpt_5_halfLds_half_ip_CI_unitstride_sbrr_dirReg,@function
fft_rtc_fwd_len150_factors_10_5_3_wgs_60_tpt_5_halfLds_half_ip_CI_unitstride_sbrr_dirReg: ; @fft_rtc_fwd_len150_factors_10_5_3_wgs_60_tpt_5_halfLds_half_ip_CI_unitstride_sbrr_dirReg
; %bb.0:
	s_load_b128 s[4:7], s[0:1], 0x0
	v_mul_u32_u24_e32 v1, 0x3334, v0
	s_clause 0x1
	s_load_b64 s[8:9], s[0:1], 0x50
	s_load_b64 s[10:11], s[0:1], 0x18
	v_mov_b32_e32 v6, 0
	v_lshrrev_b32_e32 v2, 16, v1
	v_mov_b32_e32 v1, 0
	s_delay_alu instid0(VALU_DEP_2) | instskip(NEXT) | instid1(VALU_DEP_2)
	v_mad_u64_u32 v[4:5], null, s15, 12, v[2:3]
	v_mov_b32_e32 v5, v1
	s_delay_alu instid0(VALU_DEP_2) | instskip(SKIP_2) | instid1(VALU_DEP_3)
	v_dual_mov_b32 v7, 0 :: v_dual_mov_b32 v2, v4
	s_waitcnt lgkmcnt(0)
	v_cmp_lt_u64_e64 s2, s[6:7], 2
	v_mov_b32_e32 v3, v5
	s_delay_alu instid0(VALU_DEP_2)
	s_and_b32 vcc_lo, exec_lo, s2
	s_cbranch_vccnz .LBB0_8
; %bb.1:
	s_load_b64 s[2:3], s[0:1], 0x10
	v_dual_mov_b32 v6, 0 :: v_dual_mov_b32 v9, v5
	s_add_u32 s12, s10, 8
	v_dual_mov_b32 v7, 0 :: v_dual_mov_b32 v8, v4
	s_addc_u32 s13, s11, 0
	s_mov_b64 s[16:17], 1
	s_waitcnt lgkmcnt(0)
	s_add_u32 s14, s2, 8
	s_addc_u32 s15, s3, 0
.LBB0_2:                                ; =>This Inner Loop Header: Depth=1
	s_load_b64 s[18:19], s[14:15], 0x0
	s_waitcnt lgkmcnt(0)
	s_delay_alu instid0(VALU_DEP_1) | instskip(NEXT) | instid1(VALU_DEP_1)
	v_or_b32_e32 v2, s19, v9
	v_cmp_ne_u64_e32 vcc_lo, 0, v[1:2]
                                        ; implicit-def: $vgpr2_vgpr3
	s_and_saveexec_b32 s2, vcc_lo
	s_delay_alu instid0(SALU_CYCLE_1)
	s_xor_b32 s3, exec_lo, s2
	s_cbranch_execz .LBB0_4
; %bb.3:                                ;   in Loop: Header=BB0_2 Depth=1
	v_cvt_f32_u32_e32 v2, s18
	v_cvt_f32_u32_e32 v3, s19
	s_sub_u32 s2, 0, s18
	s_subb_u32 s20, 0, s19
	s_delay_alu instid0(VALU_DEP_1) | instskip(NEXT) | instid1(VALU_DEP_1)
	v_fmac_f32_e32 v2, 0x4f800000, v3
	v_rcp_f32_e32 v2, v2
	s_waitcnt_depctr 0xfff
	v_mul_f32_e32 v2, 0x5f7ffffc, v2
	s_delay_alu instid0(VALU_DEP_1) | instskip(NEXT) | instid1(VALU_DEP_1)
	v_mul_f32_e32 v3, 0x2f800000, v2
	v_trunc_f32_e32 v3, v3
	s_delay_alu instid0(VALU_DEP_1) | instskip(SKIP_1) | instid1(VALU_DEP_2)
	v_fmac_f32_e32 v2, 0xcf800000, v3
	v_cvt_u32_f32_e32 v3, v3
	v_cvt_u32_f32_e32 v2, v2
	s_delay_alu instid0(VALU_DEP_2) | instskip(NEXT) | instid1(VALU_DEP_2)
	v_mul_lo_u32 v5, s2, v3
	v_mul_hi_u32 v10, s2, v2
	v_mul_lo_u32 v11, s20, v2
	s_delay_alu instid0(VALU_DEP_2) | instskip(SKIP_1) | instid1(VALU_DEP_2)
	v_add_nc_u32_e32 v5, v10, v5
	v_mul_lo_u32 v10, s2, v2
	v_add_nc_u32_e32 v5, v5, v11
	s_delay_alu instid0(VALU_DEP_2) | instskip(NEXT) | instid1(VALU_DEP_2)
	v_mul_hi_u32 v11, v2, v10
	v_mul_lo_u32 v12, v2, v5
	v_mul_hi_u32 v13, v2, v5
	v_mul_hi_u32 v14, v3, v10
	v_mul_lo_u32 v10, v3, v10
	v_mul_hi_u32 v15, v3, v5
	v_mul_lo_u32 v5, v3, v5
	v_add_co_u32 v11, vcc_lo, v11, v12
	v_add_co_ci_u32_e32 v12, vcc_lo, 0, v13, vcc_lo
	s_delay_alu instid0(VALU_DEP_2) | instskip(NEXT) | instid1(VALU_DEP_2)
	v_add_co_u32 v10, vcc_lo, v11, v10
	v_add_co_ci_u32_e32 v10, vcc_lo, v12, v14, vcc_lo
	v_add_co_ci_u32_e32 v11, vcc_lo, 0, v15, vcc_lo
	s_delay_alu instid0(VALU_DEP_2) | instskip(NEXT) | instid1(VALU_DEP_2)
	v_add_co_u32 v5, vcc_lo, v10, v5
	v_add_co_ci_u32_e32 v10, vcc_lo, 0, v11, vcc_lo
	s_delay_alu instid0(VALU_DEP_2) | instskip(NEXT) | instid1(VALU_DEP_2)
	v_add_co_u32 v2, vcc_lo, v2, v5
	v_add_co_ci_u32_e32 v3, vcc_lo, v3, v10, vcc_lo
	s_delay_alu instid0(VALU_DEP_2) | instskip(SKIP_1) | instid1(VALU_DEP_3)
	v_mul_hi_u32 v5, s2, v2
	v_mul_lo_u32 v11, s20, v2
	v_mul_lo_u32 v10, s2, v3
	s_delay_alu instid0(VALU_DEP_1) | instskip(SKIP_1) | instid1(VALU_DEP_2)
	v_add_nc_u32_e32 v5, v5, v10
	v_mul_lo_u32 v10, s2, v2
	v_add_nc_u32_e32 v5, v5, v11
	s_delay_alu instid0(VALU_DEP_2) | instskip(NEXT) | instid1(VALU_DEP_2)
	v_mul_hi_u32 v11, v2, v10
	v_mul_lo_u32 v12, v2, v5
	v_mul_hi_u32 v13, v2, v5
	v_mul_hi_u32 v14, v3, v10
	v_mul_lo_u32 v10, v3, v10
	v_mul_hi_u32 v15, v3, v5
	v_mul_lo_u32 v5, v3, v5
	v_add_co_u32 v11, vcc_lo, v11, v12
	v_add_co_ci_u32_e32 v12, vcc_lo, 0, v13, vcc_lo
	s_delay_alu instid0(VALU_DEP_2) | instskip(NEXT) | instid1(VALU_DEP_2)
	v_add_co_u32 v10, vcc_lo, v11, v10
	v_add_co_ci_u32_e32 v10, vcc_lo, v12, v14, vcc_lo
	v_add_co_ci_u32_e32 v11, vcc_lo, 0, v15, vcc_lo
	s_delay_alu instid0(VALU_DEP_2) | instskip(NEXT) | instid1(VALU_DEP_2)
	v_add_co_u32 v5, vcc_lo, v10, v5
	v_add_co_ci_u32_e32 v10, vcc_lo, 0, v11, vcc_lo
	s_delay_alu instid0(VALU_DEP_2) | instskip(NEXT) | instid1(VALU_DEP_2)
	v_add_co_u32 v5, vcc_lo, v2, v5
	v_add_co_ci_u32_e32 v14, vcc_lo, v3, v10, vcc_lo
	s_delay_alu instid0(VALU_DEP_2) | instskip(SKIP_1) | instid1(VALU_DEP_3)
	v_mul_hi_u32 v15, v8, v5
	v_mad_u64_u32 v[10:11], null, v9, v5, 0
	v_mad_u64_u32 v[2:3], null, v8, v14, 0
	;; [unrolled: 1-line block ×3, first 2 shown]
	s_delay_alu instid0(VALU_DEP_2) | instskip(NEXT) | instid1(VALU_DEP_3)
	v_add_co_u32 v2, vcc_lo, v15, v2
	v_add_co_ci_u32_e32 v3, vcc_lo, 0, v3, vcc_lo
	s_delay_alu instid0(VALU_DEP_2) | instskip(NEXT) | instid1(VALU_DEP_2)
	v_add_co_u32 v2, vcc_lo, v2, v10
	v_add_co_ci_u32_e32 v2, vcc_lo, v3, v11, vcc_lo
	v_add_co_ci_u32_e32 v3, vcc_lo, 0, v13, vcc_lo
	s_delay_alu instid0(VALU_DEP_2) | instskip(NEXT) | instid1(VALU_DEP_2)
	v_add_co_u32 v5, vcc_lo, v2, v12
	v_add_co_ci_u32_e32 v10, vcc_lo, 0, v3, vcc_lo
	s_delay_alu instid0(VALU_DEP_2) | instskip(SKIP_1) | instid1(VALU_DEP_3)
	v_mul_lo_u32 v11, s19, v5
	v_mad_u64_u32 v[2:3], null, s18, v5, 0
	v_mul_lo_u32 v12, s18, v10
	s_delay_alu instid0(VALU_DEP_2) | instskip(NEXT) | instid1(VALU_DEP_2)
	v_sub_co_u32 v2, vcc_lo, v8, v2
	v_add3_u32 v3, v3, v12, v11
	s_delay_alu instid0(VALU_DEP_1) | instskip(NEXT) | instid1(VALU_DEP_1)
	v_sub_nc_u32_e32 v11, v9, v3
	v_subrev_co_ci_u32_e64 v11, s2, s19, v11, vcc_lo
	v_add_co_u32 v12, s2, v5, 2
	s_delay_alu instid0(VALU_DEP_1) | instskip(SKIP_3) | instid1(VALU_DEP_3)
	v_add_co_ci_u32_e64 v13, s2, 0, v10, s2
	v_sub_co_u32 v14, s2, v2, s18
	v_sub_co_ci_u32_e32 v3, vcc_lo, v9, v3, vcc_lo
	v_subrev_co_ci_u32_e64 v11, s2, 0, v11, s2
	v_cmp_le_u32_e32 vcc_lo, s18, v14
	s_delay_alu instid0(VALU_DEP_3) | instskip(SKIP_1) | instid1(VALU_DEP_4)
	v_cmp_eq_u32_e64 s2, s19, v3
	v_cndmask_b32_e64 v14, 0, -1, vcc_lo
	v_cmp_le_u32_e32 vcc_lo, s19, v11
	v_cndmask_b32_e64 v15, 0, -1, vcc_lo
	v_cmp_le_u32_e32 vcc_lo, s18, v2
	;; [unrolled: 2-line block ×3, first 2 shown]
	v_cndmask_b32_e64 v16, 0, -1, vcc_lo
	v_cmp_eq_u32_e32 vcc_lo, s19, v11
	s_delay_alu instid0(VALU_DEP_2) | instskip(SKIP_3) | instid1(VALU_DEP_3)
	v_cndmask_b32_e64 v2, v16, v2, s2
	v_cndmask_b32_e32 v11, v15, v14, vcc_lo
	v_add_co_u32 v14, vcc_lo, v5, 1
	v_add_co_ci_u32_e32 v15, vcc_lo, 0, v10, vcc_lo
	v_cmp_ne_u32_e32 vcc_lo, 0, v11
	s_delay_alu instid0(VALU_DEP_2) | instskip(NEXT) | instid1(VALU_DEP_4)
	v_cndmask_b32_e32 v3, v15, v13, vcc_lo
	v_cndmask_b32_e32 v11, v14, v12, vcc_lo
	v_cmp_ne_u32_e32 vcc_lo, 0, v2
	s_delay_alu instid0(VALU_DEP_3) | instskip(NEXT) | instid1(VALU_DEP_3)
	v_cndmask_b32_e32 v3, v10, v3, vcc_lo
	v_cndmask_b32_e32 v2, v5, v11, vcc_lo
.LBB0_4:                                ;   in Loop: Header=BB0_2 Depth=1
	s_and_not1_saveexec_b32 s2, s3
	s_cbranch_execz .LBB0_6
; %bb.5:                                ;   in Loop: Header=BB0_2 Depth=1
	v_cvt_f32_u32_e32 v2, s18
	s_sub_i32 s3, 0, s18
	s_delay_alu instid0(VALU_DEP_1) | instskip(SKIP_2) | instid1(VALU_DEP_1)
	v_rcp_iflag_f32_e32 v2, v2
	s_waitcnt_depctr 0xfff
	v_mul_f32_e32 v2, 0x4f7ffffe, v2
	v_cvt_u32_f32_e32 v2, v2
	s_delay_alu instid0(VALU_DEP_1) | instskip(NEXT) | instid1(VALU_DEP_1)
	v_mul_lo_u32 v3, s3, v2
	v_mul_hi_u32 v3, v2, v3
	s_delay_alu instid0(VALU_DEP_1) | instskip(NEXT) | instid1(VALU_DEP_1)
	v_add_nc_u32_e32 v2, v2, v3
	v_mul_hi_u32 v2, v8, v2
	s_delay_alu instid0(VALU_DEP_1) | instskip(SKIP_1) | instid1(VALU_DEP_2)
	v_mul_lo_u32 v3, v2, s18
	v_add_nc_u32_e32 v5, 1, v2
	v_sub_nc_u32_e32 v3, v8, v3
	s_delay_alu instid0(VALU_DEP_1) | instskip(SKIP_1) | instid1(VALU_DEP_2)
	v_subrev_nc_u32_e32 v10, s18, v3
	v_cmp_le_u32_e32 vcc_lo, s18, v3
	v_dual_cndmask_b32 v3, v3, v10 :: v_dual_cndmask_b32 v2, v2, v5
	s_delay_alu instid0(VALU_DEP_1) | instskip(NEXT) | instid1(VALU_DEP_2)
	v_cmp_le_u32_e32 vcc_lo, s18, v3
	v_add_nc_u32_e32 v5, 1, v2
	s_delay_alu instid0(VALU_DEP_1)
	v_dual_mov_b32 v3, v1 :: v_dual_cndmask_b32 v2, v2, v5
.LBB0_6:                                ;   in Loop: Header=BB0_2 Depth=1
	s_or_b32 exec_lo, exec_lo, s2
	s_load_b64 s[2:3], s[12:13], 0x0
	s_delay_alu instid0(VALU_DEP_1) | instskip(NEXT) | instid1(VALU_DEP_2)
	v_mul_lo_u32 v5, v3, s18
	v_mul_lo_u32 v12, v2, s19
	v_mad_u64_u32 v[10:11], null, v2, s18, 0
	s_add_u32 s16, s16, 1
	s_addc_u32 s17, s17, 0
	s_add_u32 s12, s12, 8
	s_addc_u32 s13, s13, 0
	;; [unrolled: 2-line block ×3, first 2 shown]
	s_delay_alu instid0(VALU_DEP_1) | instskip(SKIP_1) | instid1(VALU_DEP_2)
	v_add3_u32 v5, v11, v12, v5
	v_sub_co_u32 v10, vcc_lo, v8, v10
	v_sub_co_ci_u32_e32 v5, vcc_lo, v9, v5, vcc_lo
	s_waitcnt lgkmcnt(0)
	s_delay_alu instid0(VALU_DEP_2) | instskip(NEXT) | instid1(VALU_DEP_2)
	v_mul_lo_u32 v11, s3, v10
	v_mul_lo_u32 v5, s2, v5
	v_mad_u64_u32 v[8:9], null, s2, v10, v[6:7]
	v_cmp_ge_u64_e64 s2, s[16:17], s[6:7]
	s_delay_alu instid0(VALU_DEP_1) | instskip(NEXT) | instid1(VALU_DEP_2)
	s_and_b32 vcc_lo, exec_lo, s2
	v_add3_u32 v7, v11, v9, v5
	s_delay_alu instid0(VALU_DEP_3)
	v_mov_b32_e32 v6, v8
	s_cbranch_vccnz .LBB0_8
; %bb.7:                                ;   in Loop: Header=BB0_2 Depth=1
	v_dual_mov_b32 v9, v3 :: v_dual_mov_b32 v8, v2
	s_branch .LBB0_2
.LBB0_8:
	s_lshl_b64 s[2:3], s[6:7], 3
	v_mul_hi_u32 v1, 0x33333334, v0
	s_add_u32 s2, s10, s2
	s_addc_u32 s3, s11, s3
	s_load_b64 s[2:3], s[2:3], 0x0
	s_load_b64 s[0:1], s[0:1], 0x20
	s_delay_alu instid0(VALU_DEP_1) | instskip(NEXT) | instid1(VALU_DEP_1)
	v_mul_u32_u24_e32 v1, 5, v1
	v_sub_nc_u32_e32 v0, v0, v1
	s_waitcnt lgkmcnt(0)
	v_mul_lo_u32 v5, s2, v3
	v_mul_lo_u32 v10, s3, v2
	v_mad_u64_u32 v[8:9], null, s2, v2, v[6:7]
	v_cmp_gt_u64_e32 vcc_lo, s[0:1], v[2:3]
	v_cmp_le_u64_e64 s0, s[0:1], v[2:3]
	v_or_b32_e32 v7, 40, v0
	s_delay_alu instid0(VALU_DEP_4) | instskip(SKIP_1) | instid1(VALU_DEP_4)
	v_add3_u32 v9, v10, v9, v5
	v_or_b32_e32 v10, 0x50, v0
	s_and_saveexec_b32 s1, s0
	s_delay_alu instid0(SALU_CYCLE_1)
	s_xor_b32 s0, exec_lo, s1
; %bb.9:
	v_or_b32_e32 v7, 40, v0
	v_or_b32_e32 v10, 0x50, v0
; %bb.10:
	s_or_saveexec_b32 s1, s0
	v_lshlrev_b64 v[2:3], 2, v[8:9]
                                        ; implicit-def: $vgpr19
                                        ; implicit-def: $vgpr31
                                        ; implicit-def: $vgpr20
                                        ; implicit-def: $vgpr28
                                        ; implicit-def: $vgpr22
                                        ; implicit-def: $vgpr24
                                        ; implicit-def: $vgpr23
                                        ; implicit-def: $vgpr30
                                        ; implicit-def: $vgpr14
                                        ; implicit-def: $vgpr5
                                        ; implicit-def: $vgpr54
                                        ; implicit-def: $vgpr53
                                        ; implicit-def: $vgpr55
                                        ; implicit-def: $vgpr52
                                        ; implicit-def: $vgpr56
                                        ; implicit-def: $vgpr51
                                        ; implicit-def: $vgpr57
                                        ; implicit-def: $vgpr46
                                        ; implicit-def: $vgpr18
                                        ; implicit-def: $vgpr12
                                        ; implicit-def: $vgpr39
                                        ; implicit-def: $vgpr21
                                        ; implicit-def: $vgpr40
                                        ; implicit-def: $vgpr35
                                        ; implicit-def: $vgpr43
                                        ; implicit-def: $vgpr34
                                        ; implicit-def: $vgpr44
                                        ; implicit-def: $vgpr38
                                        ; implicit-def: $vgpr1
                                        ; implicit-def: $vgpr15
                                        ; implicit-def: $vgpr26
                                        ; implicit-def: $vgpr27
                                        ; implicit-def: $vgpr32
                                        ; implicit-def: $vgpr29
                                        ; implicit-def: $vgpr6
                                        ; implicit-def: $vgpr37
                                        ; implicit-def: $vgpr41
                                        ; implicit-def: $vgpr42
                                        ; implicit-def: $vgpr36
                                        ; implicit-def: $vgpr17
                                        ; implicit-def: $vgpr9
                                        ; implicit-def: $vgpr11
                                        ; implicit-def: $vgpr13
                                        ; implicit-def: $vgpr8
                                        ; implicit-def: $vgpr16
	s_xor_b32 exec_lo, exec_lo, s1
	s_cbranch_execz .LBB0_12
; %bb.11:
	v_mov_b32_e32 v1, 0
	s_delay_alu instid0(VALU_DEP_1) | instskip(NEXT) | instid1(VALU_DEP_3)
	v_lshlrev_b64 v[5:6], 2, v[0:1]
	v_add_co_u32 v1, s0, s8, v2
	s_delay_alu instid0(VALU_DEP_1) | instskip(NEXT) | instid1(VALU_DEP_2)
	v_add_co_ci_u32_e64 v8, s0, s9, v3, s0
	v_add_co_u32 v13, s0, v1, v5
	s_delay_alu instid0(VALU_DEP_1)
	v_add_co_ci_u32_e64 v14, s0, v8, v6, s0
	s_clause 0x1d
	global_load_b32 v15, v[13:14], off
	global_load_b32 v12, v[13:14], off offset:20
	global_load_b32 v46, v[13:14], off offset:140
	;; [unrolled: 1-line block ×29, first 2 shown]
	s_waitcnt vmcnt(29)
	v_lshrrev_b32_e32 v1, 16, v15
	s_waitcnt vmcnt(28)
	v_lshrrev_b32_e32 v18, 16, v12
	;; [unrolled: 2-line block ×15, first 2 shown]
.LBB0_12:
	s_or_b32 exec_lo, exec_lo, s1
	v_mul_hi_u32 v25, 0xaaaaaaab, v4
	v_add_f16_e32 v33, v38, v15
	v_add_f16_e32 v45, v35, v34
	v_sub_f16_e32 v49, v38, v34
	v_sub_f16_e32 v50, v21, v35
	v_add_f16_e32 v58, v21, v38
	v_add_f16_e32 v33, v34, v33
	v_sub_f16_e32 v59, v34, v38
	v_lshrrev_b32_e32 v25, 3, v25
	v_fma_f16 v60, -0.5, v45, v15
	v_sub_f16_e32 v45, v35, v21
	v_add_f16_e32 v33, v35, v33
	v_sub_f16_e32 v48, v43, v40
	v_mul_lo_u32 v25, v25, 12
	v_add_f16_e32 v49, v50, v49
	v_fmac_f16_e32 v15, -0.5, v58
	v_add_f16_e32 v50, v21, v33
	v_sub_f16_e32 v47, v44, v39
	v_add_f16_e32 v61, v40, v43
	v_lshrrev_b32_e32 v63, 16, v6
	s_waitcnt vmcnt(3)
	v_pk_add_f16 v66, v26, v27 neg_lo:[0,1] neg_hi:[0,1]
	v_sub_nc_u32_e32 v4, v4, v25
	v_fmamk_f16 v25, v48, 0xbb9c, v15
	v_fmac_f16_e32 v15, 0x3b9c, v48
	v_fma_f16 v58, -0.5, v61, v1
	v_fmamk_f16 v62, v47, 0x3b9c, v60
	v_mul_u32_u24_e32 v33, 0x96, v4
	v_add_f16_e32 v4, v45, v59
	v_add_f16_e32 v45, v44, v1
	v_sub_f16_e32 v59, v38, v21
	v_fmac_f16_e32 v25, 0x38b4, v47
	v_fmac_f16_e32 v15, 0xb8b4, v47
	;; [unrolled: 1-line block ×3, first 2 shown]
	v_add_f16_e32 v38, v43, v45
	v_fmamk_f16 v21, v59, 0xbb9c, v58
	v_fmac_f16_e32 v25, 0x34f2, v4
	v_sub_f16_e32 v45, v34, v35
	v_sub_f16_e32 v34, v44, v43
	v_add_f16_e32 v38, v40, v38
	v_sub_f16_e32 v35, v39, v40
	v_add_f16_e32 v47, v39, v44
	v_fmac_f16_e32 v15, 0x34f2, v4
	v_fmac_f16_e32 v58, 0x3b9c, v59
	v_add_f16_e32 v61, v39, v38
	v_sub_f16_e32 v4, v43, v44
	v_sub_f16_e32 v38, v40, v39
	s_waitcnt vmcnt(2)
	v_pk_add_f16 v40, v29, v32 neg_lo:[0,1] neg_hi:[0,1]
	v_pk_add_f16 v43, v27, v26 neg_lo:[0,1] neg_hi:[0,1]
	v_fmac_f16_e32 v21, 0xb8b4, v45
	v_add_f16_e32 v35, v35, v34
	v_fmac_f16_e32 v1, -0.5, v47
	v_fmac_f16_e32 v58, 0x38b4, v45
	v_add_f16_e32 v4, v38, v4
	v_pk_add_f16 v39, v32, v26 neg_lo:[0,1] neg_hi:[0,1]
	v_pk_add_f16 v40, v43, v40
	v_add_f16_e32 v43, v29, v6
	v_fmac_f16_e32 v21, 0x34f2, v35
	v_fmamk_f16 v34, v45, 0x3b9c, v1
	v_fmac_f16_e32 v58, 0x34f2, v35
	v_mul_f16_e32 v35, 0x34f2, v4
	v_fmac_f16_e32 v1, 0xbb9c, v45
	v_add_f16_e32 v4, v26, v32
	v_pk_add_f16 v38, v29, v27 neg_lo:[0,1] neg_hi:[0,1]
	v_bfi_b32 v40, 0xffff, v40, v39
	v_add_f16_e32 v43, v32, v43
	v_lshrrev_b32_e32 v45, 16, v32
	v_lshrrev_b32_e32 v47, 16, v26
	v_fmac_f16_e32 v62, 0x38b4, v48
	v_fmac_f16_e32 v60, 0xb8b4, v48
	;; [unrolled: 1-line block ×4, first 2 shown]
	v_fma_f16 v4, -0.5, v4, v6
	v_lshrrev_b32_e32 v44, 16, v38
	v_pk_mul_f16 v40, 0x38b434f2, v40
	v_lshrrev_b32_e32 v59, 16, v29
	v_add_f16_e32 v64, v47, v45
	v_add_f16_e32 v43, v26, v43
	v_fmac_f16_e32 v62, 0x34f2, v49
	v_fmac_f16_e32 v60, 0x34f2, v49
	v_fmamk_f16 v48, v44, 0x3b9c, v4
	v_lshrrev_b32_e32 v49, 16, v40
	v_fmac_f16_e32 v4, 0xbb9c, v44
	v_add_f16_e32 v44, v59, v63
	v_fmac_f16_e32 v63, -0.5, v64
	v_add_f16_e32 v64, v27, v43
	v_lshrrev_b32_e32 v43, 16, v27
	v_add_f16_e32 v48, v49, v48
	v_sub_f16_e32 v4, v4, v49
	v_fmamk_f16 v49, v38, 0xbb9c, v63
	v_sub_f16_e32 v59, v59, v45
	v_sub_f16_e32 v65, v43, v47
	v_add_f16_e32 v48, v40, v48
	v_add_f16_e32 v4, v40, v4
	;; [unrolled: 1-line block ×3, first 2 shown]
	v_fmac_f16_e32 v63, 0x3b9c, v38
	v_fmac_f16_e32 v49, 0xb8b4, v39
	v_add_f16_e32 v44, v65, v59
	v_pk_add_f16 v59, v27, v29
	v_pk_add_f16 v65, v32, v29 neg_lo:[0,1] neg_hi:[0,1]
	v_fmac_f16_e32 v63, 0x38b4, v39
	v_add_f16_e32 v29, v47, v40
	v_fmac_f16_e32 v49, 0x34f2, v44
	v_mul_f16_e32 v32, 0x3a79, v48
	v_mul_f16_e32 v40, 0xb8b4, v48
	v_fmac_f16_e32 v63, 0x34f2, v44
	v_mul_f16_e32 v26, 0x3a79, v4
	v_add_f16_e32 v29, v43, v29
	v_fmac_f16_e32 v32, 0x38b4, v49
	v_fmac_f16_e32 v40, 0x3a79, v49
	v_add_f16_e32 v49, v52, v51
	v_mul_f16_e32 v27, 0x3a79, v63
	v_fma_f16 v48, v63, 0x38b4, -v26
	v_add_f16_e32 v44, v64, v50
	v_sub_f16_e32 v47, v50, v64
	v_add_f16_e32 v50, v46, v12
	v_fma_f16 v64, -0.5, v49, v12
	v_sub_f16_e32 v67, v57, v54
	v_add_f16_e32 v45, v62, v32
	v_fma_f16 v63, v4, 0xb8b4, -v27
	v_add_f16_e32 v43, v60, v48
	v_add_f16_e32 v4, v29, v61
	v_sub_f16_e32 v49, v62, v32
	v_sub_f16_e32 v48, v60, v48
	;; [unrolled: 1-line block ×3, first 2 shown]
	v_add_f16_e32 v32, v51, v50
	v_fmamk_f16 v60, v67, 0x3b9c, v64
	v_sub_f16_e32 v61, v56, v55
	v_sub_f16_e32 v50, v46, v51
	;; [unrolled: 1-line block ×3, first 2 shown]
	v_fmac_f16_e32 v64, 0xbb9c, v67
	v_add_f16_e32 v69, v53, v46
	v_add_f16_e32 v68, v52, v32
	v_fmac_f16_e32 v60, 0x38b4, v61
	v_add_f16_e32 v50, v62, v50
	v_fmac_f16_e32 v64, 0xb8b4, v61
	v_fmac_f16_e32 v12, -0.5, v69
	v_add_f16_e32 v62, v55, v56
	v_add_f16_e32 v69, v57, v18
	;; [unrolled: 1-line block ×3, first 2 shown]
	v_sub_f16_e32 v32, v58, v63
	v_add_f16_e32 v58, v53, v68
	v_fmac_f16_e32 v60, 0x34f2, v50
	v_fmac_f16_e32 v64, 0x34f2, v50
	v_fmamk_f16 v50, v61, 0xbb9c, v12
	v_sub_f16_e32 v63, v51, v46
	v_sub_f16_e32 v68, v52, v53
	v_fma_f16 v62, -0.5, v62, v18
	v_sub_f16_e32 v53, v46, v53
	v_fmac_f16_e32 v12, 0x3b9c, v61
	v_add_f16_e32 v61, v56, v69
	v_add_f16_e32 v63, v68, v63
	v_sub_f16_e32 v51, v51, v52
	v_fmamk_f16 v46, v53, 0xbb9c, v62
	v_sub_f16_e32 v52, v57, v56
	v_sub_f16_e32 v68, v54, v55
	v_add_f16_e32 v61, v55, v61
	v_fmac_f16_e32 v62, 0x3b9c, v53
	v_fmac_f16_e32 v50, 0x38b4, v67
	;; [unrolled: 1-line block ×4, first 2 shown]
	v_add_f16_e32 v52, v68, v52
	v_add_f16_e32 v67, v54, v57
	;; [unrolled: 1-line block ×3, first 2 shown]
	v_sub_f16_e32 v56, v56, v57
	v_sub_f16_e32 v54, v55, v54
	v_fmac_f16_e32 v62, 0x38b4, v51
	s_waitcnt vmcnt(1)
	v_pk_add_f16 v55, v36, v42 neg_lo:[0,1] neg_hi:[0,1]
	v_pk_add_f16 v57, v41, v37 neg_lo:[0,1] neg_hi:[0,1]
	v_fmac_f16_e32 v46, 0x34f2, v52
	v_fmac_f16_e32 v18, -0.5, v67
	v_fmac_f16_e32 v62, 0x34f2, v52
	v_pk_add_f16 v52, v42, v37 neg_lo:[0,1] neg_hi:[0,1]
	v_pk_add_f16 v55, v57, v55
	v_add_f16_e32 v54, v54, v56
	v_add_f16_e32 v56, v37, v42
	v_pk_add_f16 v57, v36, v41 neg_lo:[0,1] neg_hi:[0,1]
	v_fmac_f16_e32 v50, 0x34f2, v63
	v_bfi_b32 v55, 0xffff, v55, v52
	v_fmac_f16_e32 v12, 0x34f2, v63
	v_fmamk_f16 v63, v51, 0x3b9c, v18
	v_fmac_f16_e32 v18, 0xbb9c, v51
	v_fma_f16 v51, -0.5, v56, v17
	v_lshrrev_b32_e32 v56, 16, v57
	v_pk_mul_f16 v55, 0x38b434f2, v55
	v_lshrrev_b32_e32 v68, 16, v42
	v_lshrrev_b32_e32 v69, 16, v37
	;; [unrolled: 1-line block ×3, first 2 shown]
	v_fmamk_f16 v70, v56, 0x3b9c, v51
	v_lshrrev_b32_e32 v71, 16, v55
	v_lshrrev_b32_e32 v73, 16, v17
	v_add_f16_e32 v74, v69, v68
	v_fmac_f16_e32 v63, 0xb8b4, v53
	v_fmac_f16_e32 v18, 0x38b4, v53
	v_add_f16_e32 v53, v71, v70
	v_add_f16_e32 v70, v72, v73
	v_fmac_f16_e32 v73, -0.5, v74
	v_lshrrev_b32_e32 v74, 16, v41
	v_add_f16_e32 v67, v36, v17
	v_fmac_f16_e32 v51, 0xbb9c, v56
	v_sub_f16_e32 v72, v72, v68
	v_fmamk_f16 v56, v57, 0xbb9c, v73
	v_sub_f16_e32 v75, v74, v69
	v_fmac_f16_e32 v73, 0x3b9c, v57
	v_add_f16_e32 v67, v42, v67
	v_add_f16_e32 v68, v68, v70
	v_sub_f16_e32 v51, v51, v71
	v_add_f16_e32 v70, v75, v72
	v_fmac_f16_e32 v73, 0x38b4, v52
	v_add_f16_e32 v67, v37, v67
	v_add_f16_e32 v68, v69, v68
	;; [unrolled: 1-line block ×3, first 2 shown]
	v_fmac_f16_e32 v56, 0xb8b4, v52
	v_fmac_f16_e32 v73, 0x34f2, v70
	v_add_f16_e32 v67, v41, v67
	v_add_f16_e32 v51, v55, v51
	v_pk_add_f16 v55, v41, v36
	v_pk_add_f16 v37, v37, v41 neg_lo:[0,1] neg_hi:[0,1]
	v_add_f16_e32 v41, v74, v68
	v_mul_f16_e32 v68, 0x3a79, v73
	v_fmac_f16_e32 v56, 0x34f2, v70
	v_mul_f16_e32 v70, 0x3a79, v51
	v_sub_f16_e32 v76, v30, v24
	v_sub_f16_e32 v77, v31, v28
	v_fma_f16 v51, v51, 0xb8b4, -v68
	v_add_f16_e32 v68, v30, v5
	v_mul_f16_e32 v69, 0x3a79, v53
	v_pk_add_f16 v36, v42, v36 neg_lo:[0,1] neg_hi:[0,1]
	v_fma_f16 v42, v73, 0x38b4, -v70
	v_mul_f16_e32 v53, 0xb8b4, v53
	v_add_f16_e32 v70, v67, v58
	v_add_f16_e32 v73, v28, v24
	;; [unrolled: 1-line block ×3, first 2 shown]
	v_sub_f16_e32 v58, v58, v67
	v_add_f16_e32 v67, v24, v68
	v_sub_f16_e32 v51, v62, v51
	v_add_f16_e32 v62, v77, v76
	v_sub_f16_e32 v76, v24, v30
	v_sub_f16_e32 v77, v28, v31
	v_fmac_f16_e32 v69, 0x38b4, v56
	v_fmac_f16_e32 v53, 0x3a79, v56
	v_add_f16_e32 v56, v41, v61
	v_fma_f16 v68, -0.5, v73, v5
	v_sub_f16_e32 v73, v23, v19
	v_sub_f16_e32 v41, v61, v41
	v_add_f16_e32 v61, v28, v67
	v_add_f16_e32 v67, v31, v30
	;; [unrolled: 1-line block ×6, first 2 shown]
	v_sub_f16_e32 v60, v60, v69
	v_sub_f16_e32 v42, v64, v42
	v_fmamk_f16 v64, v73, 0x3b9c, v68
	v_sub_f16_e32 v69, v22, v20
	v_fmac_f16_e32 v5, -0.5, v67
	v_add_f16_e32 v61, v31, v61
	v_fmac_f16_e32 v68, 0xbb9c, v73
	v_add_f16_e32 v78, v20, v22
	v_sub_f16_e32 v30, v30, v31
	v_add_f16_e32 v31, v22, v77
	v_fmac_f16_e32 v64, 0x38b4, v69
	v_fmamk_f16 v67, v69, 0xbb9c, v5
	v_fmac_f16_e32 v68, 0xb8b4, v69
	v_fma_f16 v78, -0.5, v78, v14
	v_fmac_f16_e32 v5, 0x3b9c, v69
	v_add_f16_e32 v31, v20, v31
	v_fmac_f16_e32 v64, 0x34f2, v62
	v_fmac_f16_e32 v67, 0x38b4, v73
	;; [unrolled: 1-line block ×3, first 2 shown]
	v_fmamk_f16 v62, v30, 0xbb9c, v78
	v_sub_f16_e32 v24, v24, v28
	v_sub_f16_e32 v28, v23, v22
	;; [unrolled: 1-line block ×3, first 2 shown]
	v_fmac_f16_e32 v5, 0xb8b4, v73
	v_add_f16_e32 v73, v19, v23
	v_fmac_f16_e32 v78, 0x3b9c, v30
	v_add_f16_e32 v31, v19, v31
	v_sub_f16_e32 v22, v22, v23
	v_sub_f16_e32 v19, v20, v19
	s_waitcnt vmcnt(0)
	v_pk_add_f16 v20, v8, v13 neg_lo:[0,1] neg_hi:[0,1]
	v_pk_add_f16 v23, v11, v9 neg_lo:[0,1] neg_hi:[0,1]
	v_fmac_f16_e32 v62, 0xb8b4, v24
	v_add_f16_e32 v28, v69, v28
	v_fmac_f16_e32 v78, 0x38b4, v24
	v_add_f16_e32 v19, v19, v22
	v_pk_add_f16 v22, v13, v9 neg_lo:[0,1] neg_hi:[0,1]
	v_pk_add_f16 v20, v23, v20
	v_fmac_f16_e32 v14, -0.5, v73
	v_fmac_f16_e32 v62, 0x34f2, v28
	v_fmac_f16_e32 v78, 0x34f2, v28
	v_add_f16_e32 v23, v9, v13
	v_pk_add_f16 v28, v8, v11 neg_lo:[0,1] neg_hi:[0,1]
	v_bfi_b32 v20, 0xffff, v20, v22
	v_fmac_f16_e32 v67, 0x34f2, v76
	v_fmac_f16_e32 v5, 0x34f2, v76
	v_fmamk_f16 v69, v24, 0x3b9c, v14
	v_fmac_f16_e32 v14, 0xbb9c, v24
	v_fma_f16 v23, -0.5, v23, v16
	v_lshrrev_b32_e32 v73, 16, v28
	v_pk_mul_f16 v20, 0x38b434f2, v20
	v_lshrrev_b32_e32 v76, 16, v13
	v_lshrrev_b32_e32 v77, 16, v9
	v_fmac_f16_e32 v69, 0xb8b4, v30
	v_fmac_f16_e32 v14, 0x38b4, v30
	v_fmamk_f16 v30, v73, 0x3b9c, v23
	v_lshrrev_b32_e32 v79, 16, v20
	v_fmac_f16_e32 v23, 0xbb9c, v73
	v_lshrrev_b32_e32 v73, 16, v8
	v_lshrrev_b32_e32 v80, 16, v16
	v_add_f16_e32 v81, v77, v76
	v_add_f16_e32 v30, v79, v30
	v_sub_f16_e32 v23, v23, v79
	v_add_f16_e32 v24, v8, v16
	v_add_f16_e32 v79, v73, v80
	v_fmac_f16_e32 v80, -0.5, v81
	v_lshrrev_b32_e32 v81, 16, v11
	v_add_f16_e32 v30, v20, v30
	v_add_f16_e32 v20, v20, v23
	v_sub_f16_e32 v73, v73, v76
	v_fmamk_f16 v23, v28, 0xbb9c, v80
	v_sub_f16_e32 v82, v81, v77
	v_fmac_f16_e32 v80, 0x3b9c, v28
	v_add_f16_e32 v24, v13, v24
	v_pk_add_f16 v83, v11, v8
	v_fmac_f16_e32 v23, 0xb8b4, v22
	v_add_f16_e32 v73, v82, v73
	v_fmac_f16_e32 v80, 0x38b4, v22
	v_add_f16_e32 v24, v9, v24
	v_add_f16_e32 v76, v76, v79
	v_pk_add_f16 v79, v13, v8 neg_lo:[0,1] neg_hi:[0,1]
	v_pk_add_f16 v82, v9, v11 neg_lo:[0,1] neg_hi:[0,1]
	v_fmac_f16_e32 v80, 0x34f2, v73
	v_add_f16_e32 v24, v11, v24
	v_fmac_f16_e32 v23, 0x34f2, v73
	v_mul_f16_e32 v9, 0x3a79, v30
	v_mul_f16_e32 v11, 0x3a79, v20
	;; [unrolled: 1-line block ×4, first 2 shown]
	v_pk_fma_f16 v6, v59, 0.5, v6 op_sel_hi:[1,0,1] neg_lo:[1,0,0] neg_hi:[1,0,0]
	v_fmac_f16_e32 v9, 0x38b4, v23
	v_fma_f16 v11, v80, 0x38b4, -v11
	v_fma_f16 v20, v20, 0xb8b4, -v13
	v_pk_mul_f16 v13, 0x3b9c, v39 op_sel_hi:[0,1]
	v_add_f16_e32 v8, v77, v76
	v_fmac_f16_e32 v30, 0x3a79, v23
	v_add_f16_e32 v23, v64, v9
	v_add_f16_e32 v76, v68, v11
	v_sub_f16_e32 v39, v64, v9
	v_sub_f16_e32 v59, v68, v11
	v_lshlrev_b32_e32 v9, 1, v33
	v_pk_mul_f16 v11, 0x38b4, v38 op_sel_hi:[0,1]
	v_pk_add_f16 v33, v6, v13 op_sel:[0,1] op_sel_hi:[1,0] neg_lo:[0,1] neg_hi:[0,1]
	v_pk_add_f16 v6, v13, v6 op_sel:[1,0] op_sel_hi:[0,1]
	v_add_f16_e32 v8, v81, v8
	v_add_f16_e32 v73, v24, v61
	v_sub_f16_e32 v24, v61, v24
	v_pk_add_f16 v61, v66, v65
	v_pk_add_f16 v33, v11, v33 op_sel:[1,0] op_sel_hi:[0,1]
	v_pk_add_f16 v6, v6, v11 op_sel:[0,1] op_sel_hi:[1,0] neg_lo:[0,1] neg_hi:[0,1]
	v_add_f16_e32 v77, v8, v31
	v_add_f16_e32 v81, v78, v20
	v_sub_f16_e32 v31, v31, v8
	v_sub_f16_e32 v64, v78, v20
	v_pk_fma_f16 v8, 0x34f2, v61, v33 op_sel_hi:[0,1,1]
	v_pk_fma_f16 v20, 0x34f2, v61, v6 op_sel_hi:[0,1,1]
	v_pack_b32_f16 v1, v1, v34
	v_pk_fma_f16 v17, v55, 0.5, v17 op_sel_hi:[1,0,1] neg_lo:[1,0,0] neg_hi:[1,0,0]
	v_pk_mul_f16 v52, 0x3b9c, v52 op_sel_hi:[0,1]
	v_mul_f16_e32 v33, 0x34f2, v8
	v_lshrrev_b32_e32 v34, 16, v20
	v_mul_f16_e32 v61, 0x34f2, v20
	v_lshrrev_b32_e32 v65, 16, v8
	v_pk_add_f16 v55, v17, v52 op_sel:[0,1] op_sel_hi:[1,0] neg_lo:[0,1] neg_hi:[0,1]
	v_pk_add_f16 v17, v52, v17 op_sel:[1,0] op_sel_hi:[0,1]
	v_fmac_f16_e32 v33, 0x3b9c, v34
	v_pk_mul_f16 v66, 0x34f23b9c, v8
	v_fma_f16 v34, v65, 0x3b9c, -v61
	v_pk_add_f16 v36, v37, v36
	v_pk_add_f16 v35, v35, v1 op_sel_hi:[0,1]
	v_add_f16_e32 v27, v21, v40
	v_pk_fma_f16 v20, 0x34f2bb9c, v20, v66 op_sel:[0,0,1] op_sel_hi:[1,1,0] neg_lo:[0,0,1] neg_hi:[0,0,1]
	v_add_f16_e32 v65, v15, v34
	v_sub_f16_e32 v15, v15, v34
	v_pk_mul_f16 v34, 0x38b4, v57 op_sel_hi:[0,1]
	v_add_f16_e32 v61, v25, v33
	v_pk_add_f16 v66, v35, v20
	v_sub_f16_e32 v25, v25, v33
	v_sub_f16_e32 v33, v35, v20
	v_pk_add_f16 v37, v34, v55 op_sel:[1,0] op_sel_hi:[0,1]
	v_pk_add_f16 v17, v17, v34 op_sel:[0,1] op_sel_hi:[1,0] neg_lo:[0,1] neg_hi:[0,1]
	v_pack_b32_f16 v34, v43, v47
	v_bfi_b32 v21, 0xffff, v21, v35
	v_bfi_b32 v20, 0xffff, v40, v20
	v_pk_fma_f16 v37, 0x34f2, v36, v37 op_sel_hi:[0,1,1]
	v_pk_fma_f16 v17, 0x34f2, v36, v17 op_sel_hi:[0,1,1]
	v_pk_fma_f16 v16, v83, 0.5, v16 op_sel_hi:[1,0,1] neg_lo:[1,0,0] neg_hi:[1,0,0]
	v_pk_mul_f16 v22, 0x3b9c, v22 op_sel_hi:[0,1]
	v_pk_add_f16 v21, v21, v20 neg_lo:[0,1] neg_hi:[0,1]
	v_mul_f16_e32 v35, 0x34f2, v37
	v_lshrrev_b32_e32 v36, 16, v17
	v_mul_f16_e32 v40, 0x34f2, v17
	v_lshrrev_b32_e32 v43, 16, v37
	v_pk_mul_f16 v37, 0x34f23b9c, v37
	v_pk_mul_f16 v28, 0x38b4, v28 op_sel_hi:[0,1]
	v_fmac_f16_e32 v35, 0x3b9c, v36
	v_mul_u32_u24_e32 v38, 10, v0
	v_fma_f16 v20, v43, 0x3b9c, -v40
	v_pk_fma_f16 v17, 0x34f2bb9c, v17, v37 op_sel:[0,0,1] op_sel_hi:[1,1,0] neg_lo:[0,0,1] neg_hi:[0,0,1]
	v_pk_add_f16 v43, v22, v16 op_sel:[1,0] op_sel_hi:[0,1]
	v_add_f16_e32 v36, v50, v35
	v_pk_add_f16 v16, v16, v22 op_sel:[0,1] op_sel_hi:[1,0] neg_lo:[0,1] neg_hi:[0,1]
	v_add_f16_e32 v37, v12, v20
	v_add_nc_u32_e32 v13, 0, v9
	v_sub_f16_e32 v12, v12, v20
	v_sub_f16_e32 v35, v50, v35
	v_pk_add_f16 v16, v28, v16 op_sel:[1,0] op_sel_hi:[0,1]
	v_pack_b32_f16 v20, v36, v37
	v_pk_add_f16 v36, v43, v28 op_sel:[0,1] op_sel_hi:[1,0] neg_lo:[0,1] neg_hi:[0,1]
	v_pk_add_f16 v37, v82, v79
	v_mul_f16_e32 v54, 0x34f2, v54
	v_lshl_add_u32 v38, v38, 1, v13
	v_pack_b32_f16 v52, v61, v65
	v_pack_b32_f16 v44, v44, v45
	v_pack_b32_f16 v18, v18, v63
	v_pk_fma_f16 v36, 0x34f2, v37, v36 op_sel_hi:[0,1,1]
	v_pk_fma_f16 v16, 0x34f2, v37, v16 op_sel_hi:[0,1,1]
	v_pack_b32_f16 v25, v49, v25
	v_pack_b32_f16 v28, v70, v71
	v_pack_b32_f16 v35, v60, v35
	v_pack_b32_f16 v43, v72, v58
	v_pack_b32_f16 v15, v15, v48
	v_pk_add_f16 v18, v54, v18 op_sel_hi:[0,1]
	ds_store_2addr_b32 v38, v44, v52 offset1:1
	ds_store_2addr_b32 v38, v34, v25 offset0:2 offset1:3
	ds_store_2addr_b32 v38, v28, v20 offset0:25 offset1:26
	ds_store_2addr_b32 v38, v43, v35 offset0:27 offset1:28
	v_pack_b32_f16 v12, v12, v42
	v_mul_f16_e32 v20, 0x34f2, v16
	v_lshrrev_b32_e32 v25, 16, v36
	v_mul_f16_e32 v28, 0x34f2, v36
	v_lshrrev_b32_e32 v34, 16, v16
	v_pk_add_f16 v40, v18, v17
	v_sub_f16_e32 v22, v18, v17
	v_bfi_b32 v18, 0xffff, v46, v18
	v_bfi_b32 v17, 0xffff, v53, v17
	ds_store_2addr_b32 v38, v15, v12 offset0:4 offset1:29
	v_fmac_f16_e32 v20, 0x3b9c, v25
	v_fma_f16 v12, v34, 0x3b9c, -v28
	v_pk_mul_f16 v15, 0x34f23b9c, v16
	v_pk_add_f16 v25, v18, v17 neg_lo:[0,1] neg_hi:[0,1]
	v_lshlrev_b32_e32 v6, 1, v0
	v_add_f16_e32 v16, v67, v20
	v_add_f16_e32 v17, v5, v12
	v_sub_f16_e32 v18, v67, v20
	v_sub_f16_e32 v5, v5, v12
	v_pk_fma_f16 v28, 0x34f2bb9c, v36, v15 op_sel:[0,0,1] op_sel_hi:[1,1,0] neg_lo:[0,0,1] neg_hi:[0,0,1]
	v_pack_b32_f16 v15, v73, v23
	v_pack_b32_f16 v12, v16, v17
	;; [unrolled: 1-line block ×4, first 2 shown]
	v_add_f16_e32 v74, v46, v53
	v_pack_b32_f16 v5, v5, v59
	v_mul_f16_e32 v19, 0x34f2, v19
	v_add_nc_u32_e32 v8, v13, v6
	v_pack_b32_f16 v14, v14, v69
	ds_store_2addr_b32 v38, v15, v12 offset0:50 offset1:51
	ds_store_2addr_b32 v38, v17, v16 offset0:52 offset1:53
	ds_store_b32 v38, v5 offset:216
	v_alignbit_b32 v5, v66, v66, 16
	v_pack_b32_f16 v4, v4, v27
	v_add3_u32 v9, 0, v6, v9
	v_pack_b32_f16 v12, v26, v29
	v_alignbit_b32 v26, v40, v40, 16
	v_pack_b32_f16 v27, v56, v74
	v_pack_b32_f16 v29, v75, v41
	v_lshl_add_u32 v1, v7, 1, v13
	v_pk_add_f16 v14, v19, v14 op_sel_hi:[0,1]
	s_waitcnt lgkmcnt(0)
	s_barrier
	buffer_gl0_inv
	ds_load_u16 v19, v8
	ds_load_u16 v20, v9 offset:10
	ds_load_u16 v18, v9 offset:20
	;; [unrolled: 1-line block ×27, first 2 shown]
	ds_load_u16 v68, v1
	ds_load_u16 v69, v9 offset:290
	s_waitcnt lgkmcnt(0)
	s_barrier
	buffer_gl0_inv
	ds_store_2addr_b32 v38, v4, v5 offset1:1
	ds_store_2addr_b32 v38, v12, v21 offset0:2 offset1:3
	ds_store_2addr_b32 v38, v27, v26 offset0:25 offset1:26
	;; [unrolled: 1-line block ×3, first 2 shown]
	v_dual_mov_b32 v5, 0 :: v_dual_lshlrev_b32 v4, 2, v0
	v_add_f16_e32 v80, v62, v30
	v_pk_add_f16 v23, v14, v28
	v_pack_b32_f16 v32, v33, v32
	v_pack_b32_f16 v12, v22, v51
	v_lshlrev_b64 v[21:22], 2, v[4:5]
	v_sub_f16_e32 v24, v14, v28
	v_bfi_b32 v14, 0xffff, v62, v14
	v_bfi_b32 v25, 0xffff, v30, v28
	v_add_nc_u32_e32 v11, 5, v0
	ds_store_2addr_b32 v38, v32, v12 offset0:4 offset1:29
	v_alignbit_b32 v12, v23, v23, 16
	v_pack_b32_f16 v4, v77, v80
	v_pk_add_f16 v14, v14, v25 neg_lo:[0,1] neg_hi:[0,1]
	v_pack_b32_f16 v23, v81, v31
	v_add_co_u32 v21, s0, s4, v21
	v_pack_b32_f16 v24, v24, v64
	v_add_co_ci_u32_e64 v22, s0, s5, v22, s0
	ds_store_2addr_b32 v38, v4, v12 offset0:50 offset1:51
	ds_store_2addr_b32 v38, v23, v14 offset0:52 offset1:53
	ds_store_b32 v38, v24 offset:216
	v_lshlrev_b32_e32 v4, 2, v11
	s_waitcnt lgkmcnt(0)
	s_barrier
	buffer_gl0_inv
	global_load_b128 v[22:25], v[21:22], off
	v_lshlrev_b64 v[26:27], 2, v[4:5]
	v_add_nc_u32_e32 v14, 20, v0
	v_add_nc_u32_e32 v12, 25, v0
	s_delay_alu instid0(VALU_DEP_3) | instskip(NEXT) | instid1(VALU_DEP_1)
	v_add_co_u32 v26, s0, s4, v26
	v_add_co_ci_u32_e64 v27, s0, s5, v27, s0
	s_delay_alu instid0(VALU_DEP_4) | instskip(SKIP_3) | instid1(VALU_DEP_2)
	v_and_b32_e32 v4, 0xff, v14
	global_load_b128 v[26:29], v[26:27], off
	v_and_b32_e32 v21, 0xff, v12
	v_mul_lo_u16 v4, 0xcd, v4
	v_mul_lo_u16 v21, 0xcd, v21
	s_delay_alu instid0(VALU_DEP_2) | instskip(NEXT) | instid1(VALU_DEP_2)
	v_lshrrev_b16 v4, 11, v4
	v_lshrrev_b16 v21, 11, v21
	s_delay_alu instid0(VALU_DEP_2) | instskip(NEXT) | instid1(VALU_DEP_2)
	v_mul_lo_u16 v4, v4, 10
	v_mul_lo_u16 v21, v21, 10
	s_delay_alu instid0(VALU_DEP_2) | instskip(NEXT) | instid1(VALU_DEP_2)
	v_sub_nc_u16 v4, v14, v4
	v_sub_nc_u16 v21, v12, v21
	s_delay_alu instid0(VALU_DEP_2) | instskip(NEXT) | instid1(VALU_DEP_2)
	v_and_b32_e32 v4, 0xff, v4
	v_and_b32_e32 v21, 0xff, v21
	s_delay_alu instid0(VALU_DEP_2) | instskip(SKIP_1) | instid1(VALU_DEP_3)
	v_lshlrev_b32_e32 v30, 4, v4
	v_lshl_add_u32 v4, v4, 1, v13
	v_lshlrev_b32_e32 v34, 4, v21
	s_clause 0x1
	global_load_b128 v[30:33], v30, s[4:5]
	global_load_b128 v[34:37], v34, s[4:5]
	ds_load_u16 v38, v9 offset:60
	ds_load_u16 v40, v9 offset:70
	;; [unrolled: 1-line block ×16, first 2 shown]
	ds_load_u16 v79, v1
	ds_load_u16 v80, v9 offset:290
	ds_load_u16 v89, v9 offset:250
	ds_load_u16 v90, v9 offset:260
	s_waitcnt vmcnt(3)
	v_lshrrev_b32_e32 v78, 16, v22
	v_lshrrev_b32_e32 v81, 16, v23
	;; [unrolled: 1-line block ×4, first 2 shown]
	s_waitcnt lgkmcnt(19)
	v_mul_f16_e32 v83, v38, v78
	v_mul_f16_e32 v85, v39, v78
	;; [unrolled: 1-line block ×3, first 2 shown]
	s_waitcnt lgkmcnt(17)
	v_mul_f16_e32 v86, v41, v81
	v_fma_f16 v83, v39, v22, -v83
	s_waitcnt lgkmcnt(12)
	v_mul_f16_e32 v39, v66, v82
	v_fmac_f16_e32 v85, v38, v22
	v_fmac_f16_e32 v87, v41, v23
	s_waitcnt lgkmcnt(6)
	v_mul_f16_e32 v38, v75, v84
	v_fma_f16 v59, v59, v23, -v86
	v_fma_f16 v41, v65, v24, -v39
	s_waitcnt vmcnt(2)
	v_lshrrev_b32_e32 v39, 16, v26
	v_mul_f16_e32 v86, v65, v82
	v_mul_f16_e32 v65, v61, v84
	v_fma_f16 v61, v61, v25, -v38
	s_delay_alu instid0(VALU_DEP_4) | instskip(NEXT) | instid1(VALU_DEP_4)
	v_mul_f16_e32 v38, v40, v39
	v_fmac_f16_e32 v86, v66, v24
	s_delay_alu instid0(VALU_DEP_4)
	v_fmac_f16_e32 v65, v75, v25
	v_mul_f16_e32 v75, v42, v39
	v_lshrrev_b32_e32 v66, 16, v27
	v_fma_f16 v91, v42, v26, -v38
	s_waitcnt lgkmcnt(3)
	v_mul_f16_e32 v38, v79, v78
	v_mul_f16_e32 v78, v68, v78
	v_fmac_f16_e32 v75, v40, v26
	v_mul_f16_e32 v40, v56, v81
	ds_load_u16 v42, v9 offset:90
	v_fma_f16 v68, v68, v22, -v38
	v_fmac_f16_e32 v78, v79, v22
	v_mul_f16_e32 v79, v46, v81
	v_mul_f16_e32 v22, v71, v82
	;; [unrolled: 1-line block ×3, first 2 shown]
	v_fma_f16 v81, v46, v23, -v40
	ds_load_u16 v38, v9 offset:270
	ds_load_u16 v40, v9 offset:280
	v_fmac_f16_e32 v79, v56, v23
	v_fma_f16 v93, v50, v24, -v22
	s_waitcnt lgkmcnt(3)
	v_mul_f16_e32 v22, v90, v84
	v_lshrrev_b32_e32 v23, 16, v28
	v_mul_f16_e32 v84, v55, v84
	v_fmac_f16_e32 v82, v71, v24
	v_lshrrev_b32_e32 v24, 16, v29
	ds_load_u16 v46, v9 offset:100
	v_fma_f16 v71, v55, v25, -v22
	v_fmac_f16_e32 v84, v90, v25
	v_mul_f16_e32 v22, v70, v23
	v_mul_f16_e32 v25, v89, v24
	;; [unrolled: 1-line block ×6, first 2 shown]
	v_fma_f16 v55, v49, v28, -v22
	v_fma_f16 v56, v54, v29, -v25
	v_mul_f16_e32 v22, v62, v66
	v_mul_f16_e32 v66, v47, v66
	;; [unrolled: 1-line block ×4, first 2 shown]
	v_fma_f16 v88, v44, v27, -v88
	s_waitcnt lgkmcnt(3)
	v_mul_f16_e32 v44, v42, v39
	v_fmac_f16_e32 v90, v70, v28
	v_fmac_f16_e32 v94, v89, v29
	v_mul_f16_e32 v89, v43, v39
	v_fmac_f16_e32 v66, v62, v27
	v_fma_f16 v62, v52, v28, -v25
	v_fmac_f16_e32 v95, v72, v28
	s_waitcnt lgkmcnt(2)
	v_mul_f16_e32 v28, v38, v24
	v_mul_f16_e32 v72, v57, v24
	s_waitcnt vmcnt(1)
	v_lshrrev_b32_e32 v39, 16, v30
	v_fma_f16 v70, v43, v26, -v44
	v_fmac_f16_e32 v89, v42, v26
	v_fma_f16 v97, v57, v29, -v28
	v_fmac_f16_e32 v72, v38, v29
	v_lshrrev_b32_e32 v28, 16, v31
	s_waitcnt lgkmcnt(0)
	v_mul_f16_e32 v29, v46, v39
	v_lshrrev_b32_e32 v38, 16, v32
	v_mul_f16_e32 v44, v45, v39
	v_lshrrev_b32_e32 v39, 16, v33
	v_mul_f16_e32 v42, v64, v28
	v_fma_f16 v54, v45, v30, -v29
	v_mul_f16_e32 v45, v48, v28
	v_mul_f16_e32 v28, v73, v38
	v_fmac_f16_e32 v44, v46, v30
	v_mul_f16_e32 v46, v53, v38
	v_mul_f16_e32 v29, v40, v39
	s_waitcnt vmcnt(0)
	v_lshrrev_b32_e32 v30, 16, v35
	v_fma_f16 v50, v53, v32, -v28
	v_lshrrev_b32_e32 v28, 16, v34
	v_fmac_f16_e32 v92, v51, v27
	v_fma_f16 v96, v47, v27, -v22
	ds_load_u16 v26, v8
	ds_load_u16 v27, v9 offset:10
	ds_load_u16 v25, v9 offset:20
	;; [unrolled: 1-line block ×5, first 2 shown]
	v_fma_f16 v49, v48, v31, -v42
	v_fmac_f16_e32 v45, v64, v31
	v_fmac_f16_e32 v46, v73, v32
	v_fma_f16 v57, v58, v33, -v29
	v_lshrrev_b32_e32 v31, 16, v36
	v_mul_f16_e32 v32, v74, v28
	v_mul_f16_e32 v29, v60, v28
	;; [unrolled: 1-line block ×5, first 2 shown]
	v_lshrrev_b32_e32 v38, 16, v37
	v_fma_f16 v39, v60, v34, -v32
	v_fmac_f16_e32 v29, v74, v34
	v_fma_f16 v32, v67, v35, -v28
	v_fmac_f16_e32 v30, v77, v35
	v_add_f16_e32 v28, v59, v41
	v_mul_f16_e32 v34, v76, v31
	v_add_f16_e32 v35, v19, v83
	v_fmac_f16_e32 v47, v40, v33
	v_mul_f16_e32 v33, v63, v31
	v_mul_f16_e32 v31, v80, v38
	v_fma_f16 v28, -0.5, v28, v19
	v_sub_f16_e32 v42, v85, v65
	v_fma_f16 v40, v63, v36, -v34
	v_add_f16_e32 v34, v35, v59
	v_add_f16_e32 v51, v83, v61
	v_mul_f16_e32 v38, v69, v38
	v_fmac_f16_e32 v33, v76, v36
	v_fma_f16 v43, v69, v37, -v31
	v_fmamk_f16 v31, v42, 0x3b9c, v28
	v_sub_f16_e32 v36, v87, v86
	v_sub_f16_e32 v35, v83, v59
	;; [unrolled: 1-line block ×3, first 2 shown]
	v_add_f16_e32 v34, v34, v41
	v_fmac_f16_e32 v19, -0.5, v51
	v_fmac_f16_e32 v38, v80, v37
	v_fmac_f16_e32 v28, 0xbb9c, v42
	v_sub_f16_e32 v37, v59, v83
	v_sub_f16_e32 v51, v41, v61
	s_waitcnt lgkmcnt(5)
	v_add_f16_e32 v52, v26, v85
	v_add_f16_e32 v53, v87, v86
	v_fmac_f16_e32 v31, 0x38b4, v36
	v_add_f16_e32 v48, v35, v48
	v_add_f16_e32 v35, v34, v61
	v_fmamk_f16 v34, v36, 0xbb9c, v19
	v_fmac_f16_e32 v28, 0xb8b4, v36
	v_add_f16_e32 v51, v37, v51
	v_fmac_f16_e32 v19, 0x3b9c, v36
	v_add_f16_e32 v37, v52, v87
	v_fma_f16 v36, -0.5, v53, v26
	v_sub_f16_e32 v52, v83, v61
	v_fmac_f16_e32 v31, 0x34f2, v48
	v_fmac_f16_e32 v34, 0x38b4, v42
	;; [unrolled: 1-line block ×4, first 2 shown]
	v_add_f16_e32 v42, v37, v86
	v_fmamk_f16 v37, v52, 0xbb9c, v36
	v_add_f16_e32 v48, v85, v65
	v_sub_f16_e32 v53, v59, v41
	v_sub_f16_e32 v41, v85, v87
	;; [unrolled: 1-line block ×3, first 2 shown]
	v_fmac_f16_e32 v36, 0x3b9c, v52
	v_fmac_f16_e32 v34, 0x34f2, v51
	;; [unrolled: 1-line block ×3, first 2 shown]
	v_fmac_f16_e32 v26, -0.5, v48
	v_fmac_f16_e32 v37, 0xb8b4, v53
	v_add_f16_e32 v51, v41, v58
	v_sub_f16_e32 v48, v87, v85
	v_sub_f16_e32 v58, v86, v65
	v_add_f16_e32 v59, v88, v55
	v_fmac_f16_e32 v36, 0x38b4, v53
	v_add_f16_e32 v60, v20, v91
	v_fmamk_f16 v41, v53, 0x3b9c, v26
	v_fmac_f16_e32 v37, 0x34f2, v51
	v_add_f16_e32 v58, v48, v58
	v_fma_f16 v48, -0.5, v59, v20
	v_sub_f16_e32 v61, v75, v94
	v_fmac_f16_e32 v36, 0x34f2, v51
	v_fmac_f16_e32 v26, 0xbb9c, v53
	v_add_f16_e32 v51, v60, v88
	v_add_f16_e32 v64, v91, v56
	v_fmac_f16_e32 v41, 0xb8b4, v52
	v_fmamk_f16 v53, v61, 0x3b9c, v48
	v_sub_f16_e32 v60, v92, v90
	v_sub_f16_e32 v59, v91, v88
	;; [unrolled: 1-line block ×3, first 2 shown]
	v_fmac_f16_e32 v26, 0x38b4, v52
	v_add_f16_e32 v51, v51, v55
	v_fmac_f16_e32 v20, -0.5, v64
	v_fmac_f16_e32 v48, 0xbb9c, v61
	s_waitcnt lgkmcnt(4)
	v_add_f16_e32 v64, v27, v75
	v_add_f16_e32 v42, v42, v65
	v_fmac_f16_e32 v41, 0x34f2, v58
	v_fmac_f16_e32 v53, 0x38b4, v60
	v_add_f16_e32 v52, v59, v63
	v_fmac_f16_e32 v26, 0x34f2, v58
	v_add_f16_e32 v58, v51, v56
	v_fmamk_f16 v59, v60, 0xbb9c, v20
	v_sub_f16_e32 v51, v88, v91
	v_sub_f16_e32 v63, v55, v56
	v_fmac_f16_e32 v48, 0xb8b4, v60
	v_add_f16_e32 v65, v92, v90
	v_fmac_f16_e32 v20, 0x3b9c, v60
	v_add_f16_e32 v60, v64, v92
	;; [unrolled: 2-line block ×3, first 2 shown]
	v_fma_f16 v51, -0.5, v65, v27
	v_sub_f16_e32 v64, v91, v56
	v_fmac_f16_e32 v20, 0xb8b4, v61
	v_add_f16_e32 v56, v60, v90
	v_add_f16_e32 v60, v75, v94
	v_sub_f16_e32 v65, v75, v92
	v_sub_f16_e32 v67, v94, v90
	v_fmac_f16_e32 v53, 0x34f2, v52
	v_fmac_f16_e32 v48, 0x34f2, v52
	;; [unrolled: 1-line block ×3, first 2 shown]
	v_fmamk_f16 v52, v64, 0xbb9c, v51
	v_sub_f16_e32 v61, v88, v55
	v_fmac_f16_e32 v20, 0x34f2, v63
	v_fmac_f16_e32 v27, -0.5, v60
	v_add_f16_e32 v60, v65, v67
	v_fmac_f16_e32 v51, 0x3b9c, v64
	v_sub_f16_e32 v63, v92, v75
	v_sub_f16_e32 v65, v90, v94
	v_add_f16_e32 v55, v56, v94
	v_fmac_f16_e32 v52, 0xb8b4, v61
	v_fmamk_f16 v56, v61, 0x3b9c, v27
	v_add_f16_e32 v67, v81, v93
	v_fmac_f16_e32 v51, 0x38b4, v61
	v_add_f16_e32 v63, v63, v65
	v_add_f16_e32 v65, v18, v68
	v_fmac_f16_e32 v27, 0xbb9c, v61
	v_add_f16_e32 v75, v68, v71
	v_fmac_f16_e32 v52, 0x34f2, v60
	v_fmac_f16_e32 v56, 0xb8b4, v64
	v_fma_f16 v67, -0.5, v67, v18
	v_sub_f16_e32 v69, v78, v84
	v_fmac_f16_e32 v51, 0x34f2, v60
	v_add_f16_e32 v60, v65, v81
	v_sub_f16_e32 v65, v79, v82
	v_sub_f16_e32 v73, v68, v81
	;; [unrolled: 1-line block ×3, first 2 shown]
	v_fmac_f16_e32 v27, 0x38b4, v64
	v_fmac_f16_e32 v18, -0.5, v75
	v_fmac_f16_e32 v56, 0x34f2, v63
	v_fmamk_f16 v61, v69, 0x3b9c, v67
	v_add_f16_e32 v64, v73, v74
	v_fmac_f16_e32 v27, 0x34f2, v63
	v_fmac_f16_e32 v67, 0xbb9c, v69
	v_fmamk_f16 v63, v65, 0xbb9c, v18
	v_sub_f16_e32 v73, v81, v68
	v_sub_f16_e32 v74, v93, v71
	s_waitcnt lgkmcnt(3)
	v_add_f16_e32 v75, v25, v78
	v_add_f16_e32 v76, v79, v82
	v_fmac_f16_e32 v18, 0x3b9c, v65
	v_add_f16_e32 v60, v60, v93
	v_fmac_f16_e32 v61, 0x38b4, v65
	v_fmac_f16_e32 v67, 0xb8b4, v65
	;; [unrolled: 1-line block ×3, first 2 shown]
	v_add_f16_e32 v73, v73, v74
	v_add_f16_e32 v65, v75, v79
	v_fma_f16 v74, -0.5, v76, v25
	v_sub_f16_e32 v68, v68, v71
	v_fmac_f16_e32 v18, 0xb8b4, v69
	v_add_f16_e32 v69, v78, v84
	v_sub_f16_e32 v75, v78, v79
	v_sub_f16_e32 v76, v84, v82
	v_add_f16_e32 v60, v60, v71
	v_fmac_f16_e32 v61, 0x34f2, v64
	v_fmac_f16_e32 v67, 0x34f2, v64
	v_add_f16_e32 v64, v65, v82
	v_fmamk_f16 v65, v68, 0xbb9c, v74
	v_sub_f16_e32 v71, v81, v93
	v_fmac_f16_e32 v25, -0.5, v69
	v_add_f16_e32 v69, v75, v76
	v_fmac_f16_e32 v74, 0x3b9c, v68
	v_sub_f16_e32 v75, v79, v78
	v_sub_f16_e32 v76, v82, v84
	v_add_f16_e32 v77, v96, v62
	v_fmac_f16_e32 v63, 0x34f2, v73
	v_fmac_f16_e32 v18, 0x34f2, v73
	v_fmac_f16_e32 v65, 0xb8b4, v71
	v_fmamk_f16 v73, v71, 0x3b9c, v25
	v_fmac_f16_e32 v74, 0x38b4, v71
	v_add_f16_e32 v75, v75, v76
	v_add_f16_e32 v76, v17, v70
	v_fma_f16 v77, -0.5, v77, v17
	v_sub_f16_e32 v78, v89, v72
	v_fmac_f16_e32 v25, 0xbb9c, v71
	v_add_f16_e32 v81, v70, v97
	v_fmac_f16_e32 v65, 0x34f2, v69
	v_fmac_f16_e32 v73, 0xb8b4, v68
	;; [unrolled: 1-line block ×3, first 2 shown]
	v_add_f16_e32 v69, v76, v96
	v_fmamk_f16 v71, v78, 0x3b9c, v77
	v_sub_f16_e32 v76, v66, v95
	v_sub_f16_e32 v79, v70, v96
	;; [unrolled: 1-line block ×3, first 2 shown]
	v_fmac_f16_e32 v25, 0x38b4, v68
	v_fmac_f16_e32 v17, -0.5, v81
	v_fmac_f16_e32 v77, 0xbb9c, v78
	s_waitcnt lgkmcnt(2)
	v_add_f16_e32 v81, v24, v89
	v_fmac_f16_e32 v73, 0x34f2, v75
	v_add_f16_e32 v68, v69, v62
	v_fmac_f16_e32 v71, 0x38b4, v76
	;; [unrolled: 2-line block ×3, first 2 shown]
	v_fmamk_f16 v75, v76, 0xbb9c, v17
	v_sub_f16_e32 v79, v96, v70
	v_sub_f16_e32 v80, v62, v97
	v_fmac_f16_e32 v77, 0xb8b4, v76
	v_add_f16_e32 v82, v66, v95
	v_fmac_f16_e32 v17, 0x3b9c, v76
	v_add_f16_e32 v76, v81, v66
	v_fmac_f16_e32 v71, 0x34f2, v69
	v_fmac_f16_e32 v75, 0x38b4, v78
	v_add_f16_e32 v79, v79, v80
	v_fma_f16 v80, -0.5, v82, v24
	v_sub_f16_e32 v70, v70, v97
	v_fmac_f16_e32 v77, 0x34f2, v69
	v_fmac_f16_e32 v17, 0xb8b4, v78
	v_add_f16_e32 v69, v76, v95
	v_add_f16_e32 v78, v89, v72
	v_sub_f16_e32 v81, v89, v66
	v_sub_f16_e32 v82, v72, v95
	v_fmamk_f16 v76, v70, 0xbb9c, v80
	v_sub_f16_e32 v62, v96, v62
	v_fmac_f16_e32 v24, -0.5, v78
	v_add_f16_e32 v69, v69, v72
	v_add_f16_e32 v78, v81, v82
	v_fmac_f16_e32 v80, 0x3b9c, v70
	v_sub_f16_e32 v66, v66, v89
	v_sub_f16_e32 v72, v95, v72
	v_add_f16_e32 v81, v49, v50
	v_fmac_f16_e32 v75, 0x34f2, v79
	v_fmac_f16_e32 v17, 0x34f2, v79
	;; [unrolled: 1-line block ×3, first 2 shown]
	v_fmamk_f16 v79, v62, 0x3b9c, v24
	v_fmac_f16_e32 v80, 0x38b4, v62
	v_add_f16_e32 v66, v66, v72
	v_add_f16_e32 v72, v16, v54
	v_fma_f16 v81, -0.5, v81, v16
	v_sub_f16_e32 v82, v44, v47
	v_fmac_f16_e32 v24, 0xbb9c, v62
	v_add_f16_e32 v85, v54, v57
	v_add_f16_e32 v64, v64, v84
	v_fmac_f16_e32 v76, 0x34f2, v78
	v_fmac_f16_e32 v79, 0xb8b4, v70
	;; [unrolled: 1-line block ×3, first 2 shown]
	v_add_f16_e32 v62, v72, v49
	v_fmamk_f16 v72, v82, 0x3b9c, v81
	v_sub_f16_e32 v78, v45, v46
	v_sub_f16_e32 v83, v54, v49
	v_sub_f16_e32 v84, v57, v50
	v_fmac_f16_e32 v24, 0x38b4, v70
	v_fmac_f16_e32 v16, -0.5, v85
	v_fmac_f16_e32 v81, 0xbb9c, v82
	s_waitcnt lgkmcnt(1)
	v_add_f16_e32 v85, v23, v44
	v_fmac_f16_e32 v79, 0x34f2, v66
	v_add_f16_e32 v62, v62, v50
	v_fmac_f16_e32 v72, 0x38b4, v78
	v_add_f16_e32 v70, v83, v84
	v_fmac_f16_e32 v24, 0x34f2, v66
	v_fmamk_f16 v66, v78, 0xbb9c, v16
	v_sub_f16_e32 v83, v49, v54
	v_sub_f16_e32 v84, v50, v57
	v_fmac_f16_e32 v81, 0xb8b4, v78
	v_add_f16_e32 v86, v45, v46
	v_fmac_f16_e32 v16, 0x3b9c, v78
	v_add_f16_e32 v78, v85, v45
	v_add_f16_e32 v62, v62, v57
	;; [unrolled: 1-line block ×3, first 2 shown]
	v_fma_f16 v84, -0.5, v86, v23
	v_sub_f16_e32 v54, v54, v57
	v_add_f16_e32 v57, v78, v46
	v_add_f16_e32 v78, v44, v47
	v_sub_f16_e32 v49, v49, v50
	v_sub_f16_e32 v50, v44, v45
	;; [unrolled: 1-line block ×4, first 2 shown]
	v_fmac_f16_e32 v72, 0x34f2, v70
	v_fmac_f16_e32 v66, 0x38b4, v82
	;; [unrolled: 1-line block ×4, first 2 shown]
	v_fmamk_f16 v70, v54, 0xbb9c, v84
	v_sub_f16_e32 v82, v47, v46
	v_fmac_f16_e32 v23, -0.5, v78
	v_fmac_f16_e32 v84, 0x3b9c, v54
	v_add_f16_e32 v46, v32, v40
	v_add_f16_e32 v44, v44, v45
	;; [unrolled: 1-line block ×3, first 2 shown]
	v_fmac_f16_e32 v66, 0x34f2, v83
	v_fmac_f16_e32 v16, 0x34f2, v83
	v_add_f16_e32 v57, v57, v47
	v_fmac_f16_e32 v70, 0xb8b4, v49
	v_add_f16_e32 v50, v50, v82
	v_fmamk_f16 v78, v49, 0x3b9c, v23
	v_fmac_f16_e32 v84, 0x38b4, v49
	v_fmac_f16_e32 v23, 0xbb9c, v49
	v_fma_f16 v46, -0.5, v46, v15
	v_sub_f16_e32 v47, v29, v38
	v_add_f16_e32 v45, v45, v32
	v_add_f16_e32 v83, v39, v43
	v_fmac_f16_e32 v70, 0x34f2, v50
	v_fmac_f16_e32 v78, 0xb8b4, v54
	;; [unrolled: 1-line block ×4, first 2 shown]
	v_fmamk_f16 v49, v47, 0x3b9c, v46
	v_sub_f16_e32 v50, v30, v33
	v_sub_f16_e32 v54, v39, v32
	;; [unrolled: 1-line block ×3, first 2 shown]
	v_fmac_f16_e32 v46, 0xbb9c, v47
	v_add_f16_e32 v45, v45, v40
	v_fmac_f16_e32 v15, -0.5, v83
	v_fmac_f16_e32 v78, 0x34f2, v44
	v_fmac_f16_e32 v49, 0x38b4, v50
	v_add_f16_e32 v54, v54, v82
	v_fmac_f16_e32 v46, 0xb8b4, v50
	v_fmac_f16_e32 v23, 0x34f2, v44
	v_add_f16_e32 v44, v45, v43
	v_fmamk_f16 v45, v50, 0xbb9c, v15
	v_fmac_f16_e32 v15, 0x3b9c, v50
	s_waitcnt lgkmcnt(0)
	v_add_f16_e32 v50, v22, v29
	v_fmac_f16_e32 v49, 0x34f2, v54
	v_fmac_f16_e32 v46, 0x34f2, v54
	v_add_f16_e32 v54, v30, v33
	v_sub_f16_e32 v82, v32, v39
	v_sub_f16_e32 v83, v40, v43
	v_fmac_f16_e32 v45, 0x38b4, v47
	v_fmac_f16_e32 v15, 0xb8b4, v47
	v_add_f16_e32 v47, v50, v30
	v_add_f16_e32 v50, v29, v38
	v_fma_f16 v85, -0.5, v54, v22
	v_sub_f16_e32 v39, v39, v43
	v_add_f16_e32 v43, v82, v83
	v_sub_f16_e32 v32, v32, v40
	v_fmac_f16_e32 v22, -0.5, v50
	v_add_f16_e32 v40, v47, v33
	v_fmamk_f16 v82, v39, 0xbb9c, v85
	v_fmac_f16_e32 v45, 0x34f2, v43
	v_fmac_f16_e32 v15, 0x34f2, v43
	v_sub_f16_e32 v43, v29, v30
	v_sub_f16_e32 v47, v38, v33
	v_fmac_f16_e32 v85, 0x3b9c, v39
	v_fmamk_f16 v83, v32, 0x3b9c, v22
	v_sub_f16_e32 v29, v30, v29
	v_sub_f16_e32 v30, v33, v38
	v_fmac_f16_e32 v22, 0xbb9c, v32
	v_fmac_f16_e32 v82, 0xb8b4, v32
	v_add_f16_e32 v33, v43, v47
	v_fmac_f16_e32 v85, 0x38b4, v32
	v_fmac_f16_e32 v83, 0xb8b4, v39
	v_add_f16_e32 v29, v29, v30
	v_fmac_f16_e32 v22, 0x38b4, v39
	v_add_f16_e32 v68, v68, v97
	v_add_f16_e32 v86, v40, v38
	v_fmac_f16_e32 v82, 0x34f2, v33
	v_fmac_f16_e32 v85, 0x34f2, v33
	;; [unrolled: 1-line block ×4, first 2 shown]
	s_barrier
	buffer_gl0_inv
	ds_store_b16 v9, v35
	ds_store_b16 v9, v31 offset:20
	ds_store_b16 v9, v58 offset:10
	;; [unrolled: 1-line block ×7, first 2 shown]
	v_lshl_add_u32 v58, v10, 1, v13
	ds_store_b16 v9, v28 offset:80
	ds_store_b16 v9, v48 offset:90
	;; [unrolled: 1-line block ×5, first 2 shown]
	ds_store_b16 v58, v18
	ds_store_b16 v9, v68 offset:110
	ds_store_b16 v9, v71 offset:130
	;; [unrolled: 1-line block ×4, first 2 shown]
	v_lshl_add_u32 v59, v21, 1, v13
	ds_store_b16 v9, v67 offset:180
	ds_store_b16 v9, v77 offset:190
	;; [unrolled: 1-line block ×12, first 2 shown]
	s_waitcnt lgkmcnt(0)
	s_barrier
	buffer_gl0_inv
	ds_load_u16 v10, v8
	ds_load_u16 v13, v9 offset:10
	ds_load_u16 v15, v9 offset:20
	;; [unrolled: 1-line block ×27, first 2 shown]
	ds_load_u16 v45, v1
	ds_load_u16 v54, v9 offset:290
	s_waitcnt lgkmcnt(0)
	s_barrier
	buffer_gl0_inv
	ds_store_b16 v9, v42
	ds_store_b16 v9, v37 offset:20
	ds_store_b16 v9, v55 offset:10
	;; [unrolled: 1-line block ×12, first 2 shown]
	ds_store_b16 v58, v25
	ds_store_b16 v9, v69 offset:110
	ds_store_b16 v9, v76 offset:130
	;; [unrolled: 1-line block ×16, first 2 shown]
	s_waitcnt lgkmcnt(0)
	s_barrier
	buffer_gl0_inv
	s_and_saveexec_b32 s0, vcc_lo
	s_cbranch_execz .LBB0_14
; %bb.13:
	v_add_nc_u32_e32 v22, 45, v0
	v_add_nc_u32_e32 v27, 30, v0
	s_delay_alu instid0(VALU_DEP_2) | instskip(NEXT) | instid1(VALU_DEP_1)
	v_lshlrev_b32_e32 v4, 1, v22
	v_lshlrev_b64 v[23:24], 2, v[4:5]
	v_dual_mov_b32 v7, v5 :: v_dual_lshlrev_b32 v4, 1, v7
	s_delay_alu instid0(VALU_DEP_1) | instskip(NEXT) | instid1(VALU_DEP_3)
	v_lshlrev_b64 v[25:26], 2, v[4:5]
	v_add_co_u32 v23, vcc_lo, s4, v23
	s_delay_alu instid0(VALU_DEP_4) | instskip(SKIP_1) | instid1(VALU_DEP_4)
	v_add_co_ci_u32_e32 v24, vcc_lo, s5, v24, vcc_lo
	v_add_nc_u32_e32 v4, 0x46, v6
	v_add_co_u32 v25, vcc_lo, s4, v25
	global_load_b64 v[23:24], v[23:24], off offset:160
	v_add_co_ci_u32_e32 v26, vcc_lo, s5, v26, vcc_lo
	v_lshlrev_b64 v[36:37], 2, v[4:5]
	v_lshlrev_b32_e32 v4, 1, v27
	global_load_b64 v[25:26], v[25:26], off offset:160
	v_lshlrev_b64 v[41:42], 2, v[4:5]
	v_lshlrev_b32_e32 v4, 1, v12
	v_add_co_u32 v36, vcc_lo, s4, v36
	v_add_co_ci_u32_e32 v37, vcc_lo, s5, v37, vcc_lo
	s_delay_alu instid0(VALU_DEP_3)
	v_lshlrev_b64 v[51:52], 2, v[4:5]
	v_lshlrev_b32_e32 v4, 1, v14
	v_add_co_u32 v41, vcc_lo, s4, v41
	global_load_b64 v[36:37], v[36:37], off offset:160
	v_add_co_ci_u32_e32 v42, vcc_lo, s5, v42, vcc_lo
	v_lshlrev_b64 v[55:56], 2, v[4:5]
	v_add_nc_u32_e32 v4, 30, v6
	v_add_co_u32 v51, vcc_lo, s4, v51
	global_load_b64 v[41:42], v[41:42], off offset:160
	v_add_co_ci_u32_e32 v52, vcc_lo, s5, v52, vcc_lo
	v_lshlrev_b64 v[57:58], 2, v[4:5]
	v_add_nc_u32_e32 v4, 20, v6
	v_add_co_u32 v55, vcc_lo, s4, v55
	global_load_b64 v[51:52], v[51:52], off offset:160
	v_add_co_ci_u32_e32 v56, vcc_lo, s5, v56, vcc_lo
	v_lshlrev_b64 v[59:60], 2, v[4:5]
	v_lshlrev_b32_e32 v4, 1, v11
	v_add_co_u32 v57, vcc_lo, s4, v57
	global_load_b64 v[55:56], v[55:56], off offset:160
	v_add_co_ci_u32_e32 v58, vcc_lo, s5, v58, vcc_lo
	v_lshlrev_b64 v[61:62], 2, v[4:5]
	v_add_co_u32 v59, vcc_lo, s4, v59
	global_load_b64 v[57:58], v[57:58], off offset:160
	v_lshlrev_b64 v[6:7], 2, v[6:7]
	v_add_co_ci_u32_e32 v60, vcc_lo, s5, v60, vcc_lo
	v_add_co_u32 v61, vcc_lo, s4, v61
	v_add_co_ci_u32_e32 v62, vcc_lo, s5, v62, vcc_lo
	global_load_b64 v[59:60], v[59:60], off offset:160
	v_add_co_u32 v6, vcc_lo, s4, v6
	v_add_co_ci_u32_e32 v7, vcc_lo, s5, v7, vcc_lo
	s_clause 0x1
	global_load_b64 v[61:62], v[61:62], off offset:160
	global_load_b64 v[6:7], v[6:7], off offset:160
	v_mul_hi_u32 v4, 0x51eb851f, v12
	ds_load_u16 v14, v9 offset:90
	ds_load_u16 v63, v1
	ds_load_u16 v64, v9 offset:240
	ds_load_u16 v65, v9 offset:230
	;; [unrolled: 1-line block ×8, first 2 shown]
	v_mov_b32_e32 v1, v5
	v_mul_hi_u32 v11, 0x51eb851f, v27
	ds_load_u16 v72, v9 offset:20
	ds_load_u16 v73, v9 offset:30
	;; [unrolled: 1-line block ×11, first 2 shown]
	v_mul_hi_u32 v12, 0x51eb851f, v22
	v_lshlrev_b64 v[0:1], 2, v[0:1]
	v_lshrrev_b32_e32 v4, 4, v4
	v_add_co_u32 v22, vcc_lo, s8, v2
	v_lshrrev_b32_e32 v11, 4, v11
	v_add_co_ci_u32_e32 v82, vcc_lo, s9, v3, vcc_lo
	s_delay_alu instid0(VALU_DEP_4) | instskip(NEXT) | instid1(VALU_DEP_4)
	v_mul_u32_u24_e32 v4, 0x64, v4
	v_add_co_u32 v0, vcc_lo, v22, v0
	s_delay_alu instid0(VALU_DEP_3) | instskip(NEXT) | instid1(VALU_DEP_3)
	v_add_co_ci_u32_e32 v1, vcc_lo, v82, v1, vcc_lo
	v_lshlrev_b64 v[2:3], 2, v[4:5]
	v_mul_u32_u24_e32 v4, 0x64, v11
	v_lshrrev_b32_e32 v22, 4, v12
	ds_load_u16 v84, v9 offset:160
	ds_load_u16 v85, v9 offset:150
	;; [unrolled: 1-line block ×8, first 2 shown]
	ds_load_u16 v8, v8
	v_lshlrev_b64 v[11:12], 2, v[4:5]
	v_mul_u32_u24_e32 v4, 0x64, v22
	v_add_co_u32 v2, vcc_lo, v0, v2
	v_add_co_ci_u32_e32 v3, vcc_lo, v1, v3, vcc_lo
	s_delay_alu instid0(VALU_DEP_4)
	v_add_co_u32 v11, vcc_lo, v0, v11
	v_add_co_ci_u32_e32 v12, vcc_lo, v1, v12, vcc_lo
	s_waitcnt vmcnt(9)
	v_lshrrev_b32_e32 v82, 16, v23
	v_lshrrev_b32_e32 v83, 16, v24
	s_waitcnt lgkmcnt(22)
	s_delay_alu instid0(VALU_DEP_2) | instskip(SKIP_1) | instid1(VALU_DEP_2)
	v_mul_f16_e32 v91, v69, v82
	s_waitcnt lgkmcnt(13)
	v_mul_f16_e32 v22, v27, v83
	v_mul_f16_e32 v82, v53, v82
	v_mul_f16_e32 v83, v54, v83
	v_fma_f16 v53, v53, v23, -v91
	s_waitcnt vmcnt(8)
	v_lshrrev_b32_e32 v91, 16, v25
	v_fma_f16 v22, v54, v24, -v22
	v_lshrrev_b32_e32 v54, 16, v26
	v_fmac_f16_e32 v82, v23, v69
	v_fmac_f16_e32 v83, v24, v27
	v_mul_f16_e32 v23, v70, v91
	v_mul_f16_e32 v27, v49, v91
	s_waitcnt lgkmcnt(12)
	v_mul_f16_e32 v24, v78, v54
	v_mul_f16_e32 v54, v50, v54
	s_waitcnt vmcnt(7)
	v_lshrrev_b32_e32 v69, 16, v36
	v_lshrrev_b32_e32 v91, 16, v37
	v_fma_f16 v23, v49, v25, -v23
	v_fma_f16 v24, v50, v26, -v24
	v_add_f16_e32 v50, v82, v83
	v_fmac_f16_e32 v27, v25, v70
	v_add_f16_e32 v25, v82, v14
	v_fmac_f16_e32 v54, v26, v78
	v_add_f16_e32 v26, v53, v22
	v_sub_f16_e32 v49, v53, v22
	v_sub_f16_e32 v70, v82, v83
	v_mul_f16_e32 v78, v71, v69
	s_waitcnt lgkmcnt(11)
	v_mul_f16_e32 v82, v79, v91
	v_mul_f16_e32 v69, v46, v69
	;; [unrolled: 1-line block ×3, first 2 shown]
	v_fma_f16 v14, -0.5, v50, v14
	s_waitcnt vmcnt(6)
	v_lshrrev_b32_e32 v50, 16, v41
	v_add_f16_e32 v25, v83, v25
	v_lshrrev_b32_e32 v83, 16, v42
	v_fma_f16 v26, -0.5, v26, v48
	v_add_f16_e32 v53, v48, v53
	v_fma_f16 v46, v46, v36, -v78
	v_fma_f16 v47, v47, v37, -v82
	v_fmac_f16_e32 v69, v36, v71
	v_fmac_f16_e32 v91, v37, v79
	s_waitcnt lgkmcnt(8)
	v_mul_f16_e32 v36, v84, v50
	v_mul_f16_e32 v37, v80, v83
	;; [unrolled: 1-line block ×4, first 2 shown]
	s_waitcnt vmcnt(5)
	v_lshrrev_b32_e32 v79, 16, v51
	v_fmamk_f16 v83, v49, 0x3aee, v14
	v_fmac_f16_e32 v14, 0xbaee, v49
	v_fmamk_f16 v49, v70, 0xbaee, v26
	v_fmac_f16_e32 v26, 0x3aee, v70
	v_lshrrev_b32_e32 v70, 16, v52
	v_add_f16_e32 v22, v53, v22
	v_add_f16_e32 v53, v27, v54
	;; [unrolled: 1-line block ×4, first 2 shown]
	v_sub_f16_e32 v48, v23, v24
	v_add_f16_e32 v23, v45, v23
	v_fma_f16 v36, v43, v41, -v36
	v_fma_f16 v37, v44, v42, -v37
	v_fmac_f16_e32 v50, v41, v84
	v_fmac_f16_e32 v71, v42, v80
	s_waitcnt lgkmcnt(7)
	v_mul_f16_e32 v41, v85, v79
	v_mul_f16_e32 v42, v81, v70
	;; [unrolled: 1-line block ×4, first 2 shown]
	s_waitcnt vmcnt(4)
	v_lshrrev_b32_e32 v70, 16, v55
	v_lshrrev_b32_e32 v79, 16, v56
	v_sub_f16_e32 v27, v27, v54
	v_fma_f16 v53, -0.5, v53, v63
	v_add_f16_e32 v54, v54, v78
	v_fma_f16 v45, -0.5, v82, v45
	v_add_f16_e32 v63, v69, v91
	v_add_f16_e32 v78, v69, v77
	;; [unrolled: 1-line block ×3, first 2 shown]
	v_sub_f16_e32 v24, v46, v47
	v_add_f16_e32 v82, v46, v47
	v_add_f16_e32 v46, v38, v46
	v_fma_f16 v39, v39, v51, -v41
	v_fma_f16 v40, v40, v52, -v42
	v_fmac_f16_e32 v43, v51, v85
	v_fmac_f16_e32 v44, v52, v81
	s_waitcnt lgkmcnt(6)
	v_mul_f16_e32 v41, v86, v70
	v_mul_f16_e32 v42, v64, v79
	;; [unrolled: 1-line block ×4, first 2 shown]
	s_waitcnt vmcnt(3)
	v_lshrrev_b32_e32 v70, 16, v57
	v_lshrrev_b32_e32 v79, 16, v58
	v_fmamk_f16 v80, v48, 0x3aee, v53
	v_fmac_f16_e32 v53, 0xbaee, v48
	v_fmamk_f16 v48, v27, 0xbaee, v45
	v_fmac_f16_e32 v45, 0x3aee, v27
	v_fma_f16 v27, -0.5, v63, v77
	v_add_f16_e32 v63, v91, v78
	v_add_f16_e32 v78, v50, v76
	v_sub_f16_e32 v69, v69, v91
	v_fma_f16 v38, -0.5, v82, v38
	v_add_f16_e32 v46, v46, v47
	v_sub_f16_e32 v47, v36, v37
	v_add_f16_e32 v77, v50, v71
	v_add_f16_e32 v82, v36, v37
	;; [unrolled: 1-line block ×3, first 2 shown]
	v_fma_f16 v35, v35, v55, -v41
	v_fma_f16 v33, v33, v56, -v42
	v_fmac_f16_e32 v51, v55, v86
	v_fmac_f16_e32 v52, v56, v64
	s_waitcnt lgkmcnt(5)
	v_mul_f16_e32 v41, v87, v70
	v_mul_f16_e32 v42, v65, v79
	;; [unrolled: 1-line block ×4, first 2 shown]
	s_waitcnt vmcnt(2)
	v_lshrrev_b32_e32 v64, 16, v59
	v_lshrrev_b32_e32 v70, 16, v60
	v_sub_f16_e32 v50, v50, v71
	v_add_f16_e32 v71, v71, v78
	v_add_f16_e32 v78, v39, v40
	v_pack_b32_f16 v23, v23, v54
	v_fmamk_f16 v54, v24, 0x3aee, v27
	v_fmac_f16_e32 v27, 0xbaee, v24
	v_fmamk_f16 v24, v69, 0xbaee, v38
	v_fmac_f16_e32 v38, 0x3aee, v69
	v_fma_f16 v69, -0.5, v77, v76
	v_fma_f16 v34, -0.5, v82, v34
	v_add_f16_e32 v36, v36, v37
	v_sub_f16_e32 v37, v39, v40
	v_add_f16_e32 v76, v43, v44
	v_add_f16_e32 v77, v43, v75
	;; [unrolled: 1-line block ×3, first 2 shown]
	v_fma_f16 v32, v32, v57, -v41
	v_fma_f16 v30, v30, v58, -v42
	v_fmac_f16_e32 v55, v57, v87
	v_fmac_f16_e32 v56, v58, v65
	s_waitcnt lgkmcnt(4)
	v_mul_f16_e32 v41, v88, v64
	v_mul_f16_e32 v42, v66, v70
	;; [unrolled: 1-line block ×4, first 2 shown]
	s_waitcnt vmcnt(1)
	v_lshrrev_b32_e32 v64, 16, v61
	v_lshrrev_b32_e32 v65, 16, v62
	v_fma_f16 v31, -0.5, v78, v31
	s_waitcnt vmcnt(0)
	v_lshrrev_b32_e32 v70, 16, v6
	v_lshrrev_b32_e32 v78, 16, v7
	v_sub_f16_e32 v43, v43, v44
	v_pack_b32_f16 v46, v46, v63
	v_fmamk_f16 v63, v47, 0x3aee, v69
	v_fmac_f16_e32 v69, 0xbaee, v47
	v_fmamk_f16 v47, v50, 0xbaee, v34
	v_fmac_f16_e32 v34, 0x3aee, v50
	v_fma_f16 v50, -0.5, v76, v75
	v_add_f16_e32 v44, v44, v77
	v_add_f16_e32 v39, v39, v40
	v_sub_f16_e32 v40, v35, v33
	v_add_f16_e32 v75, v51, v52
	v_add_f16_e32 v77, v35, v33
	;; [unrolled: 1-line block ×3, first 2 shown]
	v_fma_f16 v29, v29, v59, -v41
	v_fma_f16 v21, v21, v60, -v42
	v_fmac_f16_e32 v57, v59, v88
	v_fmac_f16_e32 v58, v60, v66
	s_waitcnt lgkmcnt(3)
	v_mul_f16_e32 v41, v89, v64
	v_mul_f16_e32 v42, v67, v65
	;; [unrolled: 1-line block ×4, first 2 shown]
	s_waitcnt lgkmcnt(2)
	v_mul_f16_e32 v64, v90, v70
	v_mul_f16_e32 v65, v68, v78
	;; [unrolled: 1-line block ×4, first 2 shown]
	v_add_f16_e32 v76, v51, v74
	v_sub_f16_e32 v51, v51, v52
	v_pack_b32_f16 v36, v36, v71
	v_pack_b32_f16 v27, v38, v27
	v_fmamk_f16 v38, v37, 0x3aee, v50
	v_fmac_f16_e32 v50, 0xbaee, v37
	v_fmamk_f16 v37, v43, 0xbaee, v31
	v_fmac_f16_e32 v31, 0x3aee, v43
	v_fma_f16 v43, -0.5, v75, v74
	v_fma_f16 v28, -0.5, v77, v28
	v_add_f16_e32 v33, v35, v33
	v_sub_f16_e32 v35, v32, v30
	v_add_f16_e32 v71, v55, v56
	v_add_f16_e32 v75, v32, v30
	;; [unrolled: 1-line block ×3, first 2 shown]
	v_fma_f16 v18, v18, v61, -v41
	v_fma_f16 v16, v16, v62, -v42
	v_fmac_f16_e32 v59, v61, v89
	v_fmac_f16_e32 v60, v62, v67
	v_pack_b32_f16 v34, v34, v69
	v_add_f16_e32 v69, v57, v72
	v_fma_f16 v19, v19, v6, -v64
	v_fma_f16 v20, v20, v7, -v65
	v_fmac_f16_e32 v66, v6, v90
	v_fmac_f16_e32 v70, v7, v68
	v_add_f16_e32 v52, v52, v76
	v_add_f16_e32 v74, v55, v73
	v_sub_f16_e32 v55, v55, v56
	v_pack_b32_f16 v39, v39, v44
	v_pack_b32_f16 v44, v47, v63
	v_fmamk_f16 v47, v40, 0x3aee, v43
	v_fmac_f16_e32 v43, 0xbaee, v40
	v_fmamk_f16 v40, v51, 0xbaee, v28
	v_fmac_f16_e32 v28, 0x3aee, v51
	v_fma_f16 v51, -0.5, v71, v73
	v_fma_f16 v17, -0.5, v75, v17
	v_add_f16_e32 v30, v32, v30
	v_sub_f16_e32 v32, v29, v21
	v_add_f16_e32 v71, v29, v21
	v_add_f16_e32 v29, v15, v29
	v_pack_b32_f16 v7, v31, v50
	v_add_f16_e32 v41, v59, v60
	v_add_f16_e32 v50, v18, v16
	;; [unrolled: 1-line block ×3, first 2 shown]
	v_sub_f16_e32 v57, v57, v58
	v_pack_b32_f16 v31, v37, v38
	v_add_f16_e32 v38, v58, v69
	v_add_f16_e32 v58, v66, v70
	;; [unrolled: 1-line block ×3, first 2 shown]
	v_pack_b32_f16 v6, v33, v52
	v_fmamk_f16 v33, v35, 0x3aee, v51
	v_fmac_f16_e32 v51, 0xbaee, v35
	v_fmamk_f16 v35, v55, 0xbaee, v17
	v_fmac_f16_e32 v17, 0x3aee, v55
	v_add_f16_e32 v21, v29, v21
	v_sub_f16_e32 v29, v18, v16
	s_waitcnt lgkmcnt(1)
	v_add_f16_e32 v42, v59, v9
	v_sub_f16_e32 v52, v59, v60
	v_add_f16_e32 v18, v13, v18
	v_sub_f16_e32 v55, v19, v20
	v_add_f16_e32 v19, v10, v19
	v_fma_f16 v9, -0.5, v41, v9
	v_fma_f16 v13, -0.5, v50, v13
	;; [unrolled: 1-line block ×4, first 2 shown]
	s_waitcnt lgkmcnt(0)
	v_add_f16_e32 v59, v66, v8
	v_sub_f16_e32 v62, v66, v70
	v_fma_f16 v8, -0.5, v58, v8
	v_fma_f16 v10, -0.5, v61, v10
	v_add_f16_e32 v19, v19, v20
	v_pack_b32_f16 v20, v21, v38
	v_pack_b32_f16 v21, v35, v33
	v_fmamk_f16 v33, v29, 0x3aee, v9
	v_fmac_f16_e32 v9, 0xbaee, v29
	v_fmamk_f16 v29, v52, 0xbaee, v13
	v_pack_b32_f16 v28, v28, v43
	v_fmamk_f16 v43, v32, 0x3aee, v37
	v_fmac_f16_e32 v37, 0xbaee, v32
	v_fmamk_f16 v32, v57, 0xbaee, v15
	v_add_f16_e32 v16, v18, v16
	v_add_f16_e32 v18, v70, v59
	v_fmamk_f16 v35, v55, 0x3aee, v8
	v_fmac_f16_e32 v8, 0xbaee, v55
	v_fmamk_f16 v38, v62, 0xbaee, v10
	v_fmac_f16_e32 v10, 0x3aee, v62
	v_fmac_f16_e32 v13, 0x3aee, v52
	;; [unrolled: 1-line block ×3, first 2 shown]
	v_add_f16_e32 v56, v56, v74
	v_add_f16_e32 v41, v60, v42
	v_pack_b32_f16 v29, v29, v33
	v_pack_b32_f16 v40, v40, v47
	;; [unrolled: 1-line block ×10, first 2 shown]
	s_clause 0x2
	global_store_b32 v[0:1], v21, off offset:460
	global_store_b32 v[0:1], v40, off offset:480
	;; [unrolled: 1-line block ×3, first 2 shown]
	v_pack_b32_f16 v10, v38, v35
	s_clause 0x12
	global_store_b32 v[0:1], v29, off offset:420
	global_store_b32 v[0:1], v19, off offset:440
	;; [unrolled: 1-line block ×13, first 2 shown]
	global_store_b32 v[0:1], v18, off
	global_store_b32 v[0:1], v16, off offset:20
	global_store_b32 v[0:1], v20, off offset:40
	;; [unrolled: 1-line block ×5, first 2 shown]
	v_lshlrev_b64 v[2:3], 2, v[4:5]
	v_pack_b32_f16 v6, v45, v53
	v_pack_b32_f16 v7, v24, v54
	;; [unrolled: 1-line block ×4, first 2 shown]
	s_clause 0x2
	global_store_b32 v[0:1], v27, off offset:340
	global_store_b32 v[0:1], v23, off offset:160
	;; [unrolled: 1-line block ×3, first 2 shown]
	v_add_co_u32 v2, vcc_lo, v0, v2
	v_add_co_ci_u32_e32 v3, vcc_lo, v1, v3, vcc_lo
	v_pack_b32_f16 v6, v26, v14
	v_pack_b32_f16 v8, v49, v83
	s_clause 0x4
	global_store_b32 v[0:1], v7, off offset:540
	global_store_b32 v[0:1], v4, off offset:560
	;; [unrolled: 1-line block ×5, first 2 shown]
.LBB0_14:
	s_nop 0
	s_sendmsg sendmsg(MSG_DEALLOC_VGPRS)
	s_endpgm
	.section	.rodata,"a",@progbits
	.p2align	6, 0x0
	.amdhsa_kernel fft_rtc_fwd_len150_factors_10_5_3_wgs_60_tpt_5_halfLds_half_ip_CI_unitstride_sbrr_dirReg
		.amdhsa_group_segment_fixed_size 0
		.amdhsa_private_segment_fixed_size 0
		.amdhsa_kernarg_size 88
		.amdhsa_user_sgpr_count 15
		.amdhsa_user_sgpr_dispatch_ptr 0
		.amdhsa_user_sgpr_queue_ptr 0
		.amdhsa_user_sgpr_kernarg_segment_ptr 1
		.amdhsa_user_sgpr_dispatch_id 0
		.amdhsa_user_sgpr_private_segment_size 0
		.amdhsa_wavefront_size32 1
		.amdhsa_uses_dynamic_stack 0
		.amdhsa_enable_private_segment 0
		.amdhsa_system_sgpr_workgroup_id_x 1
		.amdhsa_system_sgpr_workgroup_id_y 0
		.amdhsa_system_sgpr_workgroup_id_z 0
		.amdhsa_system_sgpr_workgroup_info 0
		.amdhsa_system_vgpr_workitem_id 0
		.amdhsa_next_free_vgpr 98
		.amdhsa_next_free_sgpr 21
		.amdhsa_reserve_vcc 1
		.amdhsa_float_round_mode_32 0
		.amdhsa_float_round_mode_16_64 0
		.amdhsa_float_denorm_mode_32 3
		.amdhsa_float_denorm_mode_16_64 3
		.amdhsa_dx10_clamp 1
		.amdhsa_ieee_mode 1
		.amdhsa_fp16_overflow 0
		.amdhsa_workgroup_processor_mode 1
		.amdhsa_memory_ordered 1
		.amdhsa_forward_progress 0
		.amdhsa_shared_vgpr_count 0
		.amdhsa_exception_fp_ieee_invalid_op 0
		.amdhsa_exception_fp_denorm_src 0
		.amdhsa_exception_fp_ieee_div_zero 0
		.amdhsa_exception_fp_ieee_overflow 0
		.amdhsa_exception_fp_ieee_underflow 0
		.amdhsa_exception_fp_ieee_inexact 0
		.amdhsa_exception_int_div_zero 0
	.end_amdhsa_kernel
	.text
.Lfunc_end0:
	.size	fft_rtc_fwd_len150_factors_10_5_3_wgs_60_tpt_5_halfLds_half_ip_CI_unitstride_sbrr_dirReg, .Lfunc_end0-fft_rtc_fwd_len150_factors_10_5_3_wgs_60_tpt_5_halfLds_half_ip_CI_unitstride_sbrr_dirReg
                                        ; -- End function
	.section	.AMDGPU.csdata,"",@progbits
; Kernel info:
; codeLenInByte = 11912
; NumSgprs: 23
; NumVgprs: 98
; ScratchSize: 0
; MemoryBound: 0
; FloatMode: 240
; IeeeMode: 1
; LDSByteSize: 0 bytes/workgroup (compile time only)
; SGPRBlocks: 2
; VGPRBlocks: 12
; NumSGPRsForWavesPerEU: 23
; NumVGPRsForWavesPerEU: 98
; Occupancy: 12
; WaveLimiterHint : 1
; COMPUTE_PGM_RSRC2:SCRATCH_EN: 0
; COMPUTE_PGM_RSRC2:USER_SGPR: 15
; COMPUTE_PGM_RSRC2:TRAP_HANDLER: 0
; COMPUTE_PGM_RSRC2:TGID_X_EN: 1
; COMPUTE_PGM_RSRC2:TGID_Y_EN: 0
; COMPUTE_PGM_RSRC2:TGID_Z_EN: 0
; COMPUTE_PGM_RSRC2:TIDIG_COMP_CNT: 0
	.text
	.p2alignl 7, 3214868480
	.fill 96, 4, 3214868480
	.type	__hip_cuid_28e21db927d1f8a0,@object ; @__hip_cuid_28e21db927d1f8a0
	.section	.bss,"aw",@nobits
	.globl	__hip_cuid_28e21db927d1f8a0
__hip_cuid_28e21db927d1f8a0:
	.byte	0                               ; 0x0
	.size	__hip_cuid_28e21db927d1f8a0, 1

	.ident	"AMD clang version 19.0.0git (https://github.com/RadeonOpenCompute/llvm-project roc-6.4.0 25133 c7fe45cf4b819c5991fe208aaa96edf142730f1d)"
	.section	".note.GNU-stack","",@progbits
	.addrsig
	.addrsig_sym __hip_cuid_28e21db927d1f8a0
	.amdgpu_metadata
---
amdhsa.kernels:
  - .args:
      - .actual_access:  read_only
        .address_space:  global
        .offset:         0
        .size:           8
        .value_kind:     global_buffer
      - .offset:         8
        .size:           8
        .value_kind:     by_value
      - .actual_access:  read_only
        .address_space:  global
        .offset:         16
        .size:           8
        .value_kind:     global_buffer
      - .actual_access:  read_only
        .address_space:  global
        .offset:         24
        .size:           8
        .value_kind:     global_buffer
      - .offset:         32
        .size:           8
        .value_kind:     by_value
      - .actual_access:  read_only
        .address_space:  global
        .offset:         40
        .size:           8
        .value_kind:     global_buffer
      - .actual_access:  read_only
        .address_space:  global
        .offset:         48
        .size:           8
        .value_kind:     global_buffer
      - .offset:         56
        .size:           4
        .value_kind:     by_value
      - .actual_access:  read_only
        .address_space:  global
        .offset:         64
        .size:           8
        .value_kind:     global_buffer
      - .actual_access:  read_only
        .address_space:  global
        .offset:         72
        .size:           8
        .value_kind:     global_buffer
      - .address_space:  global
        .offset:         80
        .size:           8
        .value_kind:     global_buffer
    .group_segment_fixed_size: 0
    .kernarg_segment_align: 8
    .kernarg_segment_size: 88
    .language:       OpenCL C
    .language_version:
      - 2
      - 0
    .max_flat_workgroup_size: 60
    .name:           fft_rtc_fwd_len150_factors_10_5_3_wgs_60_tpt_5_halfLds_half_ip_CI_unitstride_sbrr_dirReg
    .private_segment_fixed_size: 0
    .sgpr_count:     23
    .sgpr_spill_count: 0
    .symbol:         fft_rtc_fwd_len150_factors_10_5_3_wgs_60_tpt_5_halfLds_half_ip_CI_unitstride_sbrr_dirReg.kd
    .uniform_work_group_size: 1
    .uses_dynamic_stack: false
    .vgpr_count:     98
    .vgpr_spill_count: 0
    .wavefront_size: 32
    .workgroup_processor_mode: 1
amdhsa.target:   amdgcn-amd-amdhsa--gfx1100
amdhsa.version:
  - 1
  - 2
...

	.end_amdgpu_metadata
